;; amdgpu-corpus repo=ROCm/rocSOLVER kind=compiled arch=gfx1250 opt=O3
	.amdgcn_target "amdgcn-amd-amdhsa--gfx1250"
	.amdhsa_code_object_version 6
	.section	.text._ZN9rocsolver6v33100L6iota_nIfEEvPT_jS2_,"axG",@progbits,_ZN9rocsolver6v33100L6iota_nIfEEvPT_jS2_,comdat
	.globl	_ZN9rocsolver6v33100L6iota_nIfEEvPT_jS2_ ; -- Begin function _ZN9rocsolver6v33100L6iota_nIfEEvPT_jS2_
	.p2align	8
	.type	_ZN9rocsolver6v33100L6iota_nIfEEvPT_jS2_,@function
_ZN9rocsolver6v33100L6iota_nIfEEvPT_jS2_: ; @_ZN9rocsolver6v33100L6iota_nIfEEvPT_jS2_
; %bb.0:
	s_load_b64 s[2:3], s[0:1], 0x8
	s_wait_kmcnt 0x0
	v_cmp_gt_u32_e32 vcc_lo, s2, v0
	s_and_saveexec_b32 s2, vcc_lo
	s_cbranch_execz .LBB0_2
; %bb.1:
	s_load_b64 s[0:1], s[0:1], 0x0
	v_cvt_f32_ubyte0_e32 v1, v0
	s_delay_alu instid0(VALU_DEP_1)
	v_add_f32_e32 v1, s3, v1
	s_wait_kmcnt 0x0
	global_store_b32 v0, v1, s[0:1] scale_offset
.LBB0_2:
	s_endpgm
	.section	.rodata,"a",@progbits
	.p2align	6, 0x0
	.amdhsa_kernel _ZN9rocsolver6v33100L6iota_nIfEEvPT_jS2_
		.amdhsa_group_segment_fixed_size 0
		.amdhsa_private_segment_fixed_size 0
		.amdhsa_kernarg_size 16
		.amdhsa_user_sgpr_count 2
		.amdhsa_user_sgpr_dispatch_ptr 0
		.amdhsa_user_sgpr_queue_ptr 0
		.amdhsa_user_sgpr_kernarg_segment_ptr 1
		.amdhsa_user_sgpr_dispatch_id 0
		.amdhsa_user_sgpr_kernarg_preload_length 0
		.amdhsa_user_sgpr_kernarg_preload_offset 0
		.amdhsa_user_sgpr_private_segment_size 0
		.amdhsa_wavefront_size32 1
		.amdhsa_uses_dynamic_stack 0
		.amdhsa_enable_private_segment 0
		.amdhsa_system_sgpr_workgroup_id_x 1
		.amdhsa_system_sgpr_workgroup_id_y 0
		.amdhsa_system_sgpr_workgroup_id_z 0
		.amdhsa_system_sgpr_workgroup_info 0
		.amdhsa_system_vgpr_workitem_id 0
		.amdhsa_next_free_vgpr 2
		.amdhsa_next_free_sgpr 4
		.amdhsa_named_barrier_count 0
		.amdhsa_reserve_vcc 1
		.amdhsa_float_round_mode_32 0
		.amdhsa_float_round_mode_16_64 0
		.amdhsa_float_denorm_mode_32 3
		.amdhsa_float_denorm_mode_16_64 3
		.amdhsa_fp16_overflow 0
		.amdhsa_memory_ordered 1
		.amdhsa_forward_progress 1
		.amdhsa_inst_pref_size 1
		.amdhsa_round_robin_scheduling 0
		.amdhsa_exception_fp_ieee_invalid_op 0
		.amdhsa_exception_fp_denorm_src 0
		.amdhsa_exception_fp_ieee_div_zero 0
		.amdhsa_exception_fp_ieee_overflow 0
		.amdhsa_exception_fp_ieee_underflow 0
		.amdhsa_exception_fp_ieee_inexact 0
		.amdhsa_exception_int_div_zero 0
	.end_amdhsa_kernel
	.section	.text._ZN9rocsolver6v33100L6iota_nIfEEvPT_jS2_,"axG",@progbits,_ZN9rocsolver6v33100L6iota_nIfEEvPT_jS2_,comdat
.Lfunc_end0:
	.size	_ZN9rocsolver6v33100L6iota_nIfEEvPT_jS2_, .Lfunc_end0-_ZN9rocsolver6v33100L6iota_nIfEEvPT_jS2_
                                        ; -- End function
	.set _ZN9rocsolver6v33100L6iota_nIfEEvPT_jS2_.num_vgpr, 2
	.set _ZN9rocsolver6v33100L6iota_nIfEEvPT_jS2_.num_agpr, 0
	.set _ZN9rocsolver6v33100L6iota_nIfEEvPT_jS2_.numbered_sgpr, 4
	.set _ZN9rocsolver6v33100L6iota_nIfEEvPT_jS2_.num_named_barrier, 0
	.set _ZN9rocsolver6v33100L6iota_nIfEEvPT_jS2_.private_seg_size, 0
	.set _ZN9rocsolver6v33100L6iota_nIfEEvPT_jS2_.uses_vcc, 1
	.set _ZN9rocsolver6v33100L6iota_nIfEEvPT_jS2_.uses_flat_scratch, 0
	.set _ZN9rocsolver6v33100L6iota_nIfEEvPT_jS2_.has_dyn_sized_stack, 0
	.set _ZN9rocsolver6v33100L6iota_nIfEEvPT_jS2_.has_recursion, 0
	.set _ZN9rocsolver6v33100L6iota_nIfEEvPT_jS2_.has_indirect_call, 0
	.section	.AMDGPU.csdata,"",@progbits
; Kernel info:
; codeLenInByte = 64
; TotalNumSgprs: 6
; NumVgprs: 2
; ScratchSize: 0
; MemoryBound: 0
; FloatMode: 240
; IeeeMode: 1
; LDSByteSize: 0 bytes/workgroup (compile time only)
; SGPRBlocks: 0
; VGPRBlocks: 0
; NumSGPRsForWavesPerEU: 6
; NumVGPRsForWavesPerEU: 2
; NamedBarCnt: 0
; Occupancy: 16
; WaveLimiterHint : 0
; COMPUTE_PGM_RSRC2:SCRATCH_EN: 0
; COMPUTE_PGM_RSRC2:USER_SGPR: 2
; COMPUTE_PGM_RSRC2:TRAP_HANDLER: 0
; COMPUTE_PGM_RSRC2:TGID_X_EN: 1
; COMPUTE_PGM_RSRC2:TGID_Y_EN: 0
; COMPUTE_PGM_RSRC2:TGID_Z_EN: 0
; COMPUTE_PGM_RSRC2:TIDIG_COMP_CNT: 0
	.section	.text._ZN9rocsolver6v33100L16larf_left_kernelILi1024EfiPfEEvT1_S3_T2_lS3_lPKT0_lS4_lS3_l,"axG",@progbits,_ZN9rocsolver6v33100L16larf_left_kernelILi1024EfiPfEEvT1_S3_T2_lS3_lPKT0_lS4_lS3_l,comdat
	.globl	_ZN9rocsolver6v33100L16larf_left_kernelILi1024EfiPfEEvT1_S3_T2_lS3_lPKT0_lS4_lS3_l ; -- Begin function _ZN9rocsolver6v33100L16larf_left_kernelILi1024EfiPfEEvT1_S3_T2_lS3_lPKT0_lS4_lS3_l
	.p2align	8
	.type	_ZN9rocsolver6v33100L16larf_left_kernelILi1024EfiPfEEvT1_S3_T2_lS3_lPKT0_lS4_lS3_l,@function
_ZN9rocsolver6v33100L16larf_left_kernelILi1024EfiPfEEvT1_S3_T2_lS3_lPKT0_lS4_lS3_l: ; @_ZN9rocsolver6v33100L16larf_left_kernelILi1024EfiPfEEvT1_S3_T2_lS3_lPKT0_lS4_lS3_l
; %bb.0:
	s_clause 0x3
	s_load_b96 s[16:18], s[0:1], 0x40
	s_load_b32 s30, s[0:1], 0x0
	s_load_b64 s[2:3], s[0:1], 0x50
	s_load_b256 s[4:11], s[0:1], 0x20
	s_bfe_u32 s12, ttmp6, 0x40010
	s_bfe_u32 s19, ttmp6, 0x40014
	s_and_b32 s14, ttmp7, 0xffff
	s_lshr_b32 s15, ttmp7, 16
	s_add_co_i32 s12, s12, 1
	s_add_co_i32 s19, s19, 1
	s_bfe_u32 s13, ttmp6, 0x40004
	s_bfe_u32 s20, ttmp6, 0x40008
	s_mul_i32 s12, s14, s12
	s_mul_i32 s19, s15, s19
	s_getreg_b32 s22, hwreg(HW_REG_IB_STS2, 6, 4)
	s_add_co_i32 s23, s13, s12
	s_add_co_i32 s20, s20, s19
	s_mov_b32 s21, 0
	v_mov_b32_e32 v3, 0
	s_wait_kmcnt 0x0
	s_ashr_i32 s13, s18, 31
	s_cmp_eq_u32 s22, 0
	v_cmp_gt_i32_e32 vcc_lo, s30, v0
	v_xad_u32 v6, v0, -1, s30
	s_mov_b32 s12, s18
	s_cselect_b32 s20, s15, s20
	s_cselect_b32 s14, s14, s23
	s_mov_b32 s15, s21
	s_mul_u64 s[2:3], s[2:3], s[20:21]
	s_mul_u64 s[18:19], s[12:13], s[14:15]
	s_and_saveexec_b32 s31, vcc_lo
	s_cbranch_execz .LBB1_12
; %bb.1:
	s_clause 0x1
	s_load_b32 s22, s[0:1], 0x18
	s_load_b128 s[12:15], s[0:1], 0x8
	s_sub_co_i32 s24, 1, s30
	v_lshl_add_u32 v7, v0, 2, 0x80
	v_mov_b32_e32 v2, v0
	s_mul_u64 s[4:5], s[4:5], s[20:21]
	s_mov_b32 s26, -1
                                        ; implicit-def: $vgpr8
	s_wait_kmcnt 0x0
	s_ashr_i32 s23, s22, 31
	s_mul_i32 s24, s22, s24
	v_cmp_lt_i64_e64 s1, s[22:23], 1
	s_and_b32 s1, s1, exec_lo
	s_cselect_b32 s24, s24, 0
	s_mov_b32 s1, exec_lo
	s_ashr_i32 s25, s24, 31
	v_cmpx_lt_u32_e32 0x3ff, v6
	s_cbranch_execz .LBB1_5
; %bb.2:
	v_dual_lshrrev_b32 v1, 10, v6 :: v_dual_mov_b32 v3, 0
	v_lshl_add_u32 v8, v0, 2, 0x80
	s_lshl_b64 s[26:27], s[4:5], 2
	s_lshl_b64 s[28:29], s[14:15], 2
	s_delay_alu instid0(VALU_DEP_2)
	v_add_nc_u32_e32 v9, 1, v1
	v_or_b32_e32 v1, 0x400, v0
	v_add_nc_u32_e32 v11, 0, v8
	s_add_nc_u64 s[26:27], s[12:13], s[26:27]
	s_lshl_b64 s[34:35], s[24:25], 2
	v_and_b32_e32 v10, 0x7ffffe, v9
	v_mov_b64_e32 v[4:5], v[0:1]
	s_add_nc_u64 s[26:27], s[26:27], s[28:29]
	s_mov_b32 s28, s22
	s_add_nc_u64 s[26:27], s[26:27], s[34:35]
	v_mov_b32_e32 v12, v10
	s_mov_b32 s29, s23
	s_mov_b32 s33, 0
.LBB1_3:                                ; =>This Inner Loop Header: Depth=1
	v_dual_mov_b32 v2, v4 :: v_dual_mov_b32 v14, v5
	s_delay_alu instid0(VALU_DEP_2) | instskip(SKIP_1) | instid1(VALU_DEP_3)
	v_dual_mov_b32 v15, v3 :: v_dual_add_nc_u32 v12, -2, v12
	v_add_nc_u32_e32 v5, 0x800, v5
	v_mul_u64_e32 v[16:17], s[22:23], v[2:3]
	v_add_nc_u32_e32 v4, 0x800, v4
	s_delay_alu instid0(VALU_DEP_4)
	v_mul_u64_e32 v[14:15], s[28:29], v[14:15]
	v_cmp_eq_u32_e64 s0, 0, v12
	s_or_b32 s33, s0, s33
	v_lshl_add_u64 v[16:17], v[16:17], 2, s[26:27]
	v_lshl_add_u64 v[14:15], v[14:15], 2, s[26:27]
	s_clause 0x1
	global_load_b32 v1, v[16:17], off
	global_load_b32 v2, v[14:15], off
	s_wait_loadcnt 0x0
	ds_store_2addr_stride64_b32 v11, v1, v2 offset1:16
	v_add_nc_u32_e32 v11, 0x2000, v11
	s_wait_xcnt 0x0
	s_and_not1_b32 exec_lo, exec_lo, s33
	s_cbranch_execnz .LBB1_3
; %bb.4:
	s_or_b32 exec_lo, exec_lo, s33
	v_cmp_ne_u32_e64 s0, v9, v10
	v_lshl_or_b32 v2, v10, 10, v0
	s_or_not1_b32 s26, s0, exec_lo
.LBB1_5:
	s_or_b32 exec_lo, exec_lo, s1
	s_and_saveexec_b32 s1, s26
	s_cbranch_execz .LBB1_9
; %bb.6:
	v_dual_mov_b32 v3, 0 :: v_dual_lshlrev_b32 v1, 2, v2
	s_lshl_b64 s[24:25], s[24:25], 2
	s_lshl_b64 s[14:15], s[14:15], 2
	s_add_nc_u64 s[12:13], s[12:13], s[24:25]
	s_delay_alu instid0(VALU_DEP_1)
	v_mul_u64_e32 v[4:5], s[22:23], v[2:3]
	s_lshl_b64 s[4:5], s[4:5], 2
	s_add_nc_u64 s[12:13], s[12:13], s[14:15]
	v_add3_u32 v1, v1, 0, 0x80
	s_add_nc_u64 s[4:5], s[12:13], s[4:5]
	s_mov_b32 s12, 0
	s_delay_alu instid0(VALU_DEP_2)
	v_lshl_add_u64 v[4:5], v[4:5], 2, s[4:5]
	s_lshl_b64 s[4:5], s[22:23], 12
.LBB1_7:                                ; =>This Inner Loop Header: Depth=1
	global_load_b32 v3, v[4:5], off
	v_add_nc_u32_e32 v2, 0x400, v2
	s_wait_xcnt 0x0
	v_add_nc_u64_e32 v[4:5], s[4:5], v[4:5]
	s_delay_alu instid0(VALU_DEP_2)
	v_cmp_le_i32_e64 s0, s30, v2
	s_or_b32 s12, s0, s12
	s_wait_loadcnt 0x0
	ds_store_b32 v1, v3
	v_add_nc_u32_e32 v1, 0x1000, v1
	s_and_not1_b32 exec_lo, exec_lo, s12
	s_cbranch_execnz .LBB1_7
; %bb.8:
	s_or_b32 exec_lo, exec_lo, s12
	v_mov_b32_e32 v8, v7
.LBB1_9:
	s_or_b32 exec_lo, exec_lo, s1
	s_lshl_b64 s[0:1], s[2:3], 2
	s_lshl_b64 s[4:5], s[18:19], 2
	v_dual_mov_b32 v3, 0 :: v_dual_lshlrev_b32 v2, 2, v0
	s_add_nc_u64 s[0:1], s[0:1], s[4:5]
	s_lshl_b64 s[4:5], s[16:17], 2
	v_add_nc_u32_e32 v1, 0, v8
	s_add_nc_u64 s[0:1], s[0:1], s[4:5]
	s_delay_alu instid0(SALU_CYCLE_1) | instskip(NEXT) | instid1(SALU_CYCLE_1)
	s_add_nc_u64 s[0:1], s[10:11], s[0:1]
	v_add_nc_u64_e32 v[4:5], s[0:1], v[2:3]
	v_mov_b32_e32 v2, v0
	s_mov_b32 s1, 0
.LBB1_10:                               ; =>This Inner Loop Header: Depth=1
	global_load_b32 v7, v[4:5], off
	ds_load_b32 v8, v1
	v_add_nc_u32_e32 v2, 0x400, v2
	s_wait_xcnt 0x0
	v_add_nc_u64_e32 v[4:5], 0x1000, v[4:5]
	v_add_nc_u32_e32 v1, 0x1000, v1
	s_wait_loadcnt_dscnt 0x0
	v_fmac_f32_e32 v3, v7, v8
	v_cmp_le_i32_e64 s0, s30, v2
	s_or_b32 s1, s0, s1
	s_delay_alu instid0(SALU_CYCLE_1)
	s_and_not1_b32 exec_lo, exec_lo, s1
	s_cbranch_execnz .LBB1_10
; %bb.11:
	s_or_b32 exec_lo, exec_lo, s1
.LBB1_12:
	s_delay_alu instid0(SALU_CYCLE_1) | instskip(SKIP_2) | instid1(VALU_DEP_1)
	s_or_b32 exec_lo, exec_lo, s31
	v_mbcnt_lo_u32_b32 v1, -1, 0
	s_mov_b32 s1, exec_lo
	v_cmp_ne_u32_e64 s0, 31, v1
	s_delay_alu instid0(VALU_DEP_1) | instskip(SKIP_1) | instid1(VALU_DEP_2)
	v_add_co_ci_u32_e64 v2, null, 0, v1, s0
	v_cmp_gt_u32_e64 s0, 30, v1
	v_lshlrev_b32_e32 v2, 2, v2
	s_delay_alu instid0(VALU_DEP_2)
	v_cndmask_b32_e64 v4, 0, 2, s0
	v_cmp_gt_u32_e64 s0, 28, v1
	ds_bpermute_b32 v2, v2, v3
	v_add_lshl_u32 v4, v4, v1, 2
	s_wait_dscnt 0x0
	v_add_f32_e32 v2, v3, v2
	ds_bpermute_b32 v3, v4, v2
	v_cndmask_b32_e64 v4, 0, 4, s0
	v_cmp_gt_u32_e64 s0, 24, v1
	s_delay_alu instid0(VALU_DEP_2) | instskip(SKIP_4) | instid1(VALU_DEP_1)
	v_add_lshl_u32 v4, v4, v1, 2
	s_wait_dscnt 0x0
	v_add_f32_e32 v2, v2, v3
	ds_bpermute_b32 v3, v4, v2
	v_cndmask_b32_e64 v4, 0, 8, s0
	v_add_lshl_u32 v4, v4, v1, 2
	v_lshl_or_b32 v1, v1, 2, 64
	s_wait_dscnt 0x0
	v_add_f32_e32 v2, v2, v3
	ds_bpermute_b32 v3, v4, v2
	s_wait_dscnt 0x0
	v_dual_add_f32 v2, v2, v3 :: v_dual_bitop2_b32 v3, 31, v0 bitop3:0x40
	ds_bpermute_b32 v1, v1, v2
	s_wait_dscnt 0x0
	v_add_f32_e32 v1, v2, v1
	v_cmpx_eq_u32_e32 0, v3
; %bb.13:
	v_lshrrev_b32_e32 v2, 3, v0
	s_delay_alu instid0(VALU_DEP_1)
	v_add_nc_u32_e32 v2, 0, v2
	ds_store_b32 v2, v1
; %bb.14:
	s_or_b32 exec_lo, exec_lo, s1
	s_delay_alu instid0(SALU_CYCLE_1)
	s_mov_b32 s1, exec_lo
	s_wait_dscnt 0x0
	s_barrier_signal -1
	s_barrier_wait -1
	v_cmpx_eq_u32_e32 0, v0
	s_cbranch_execz .LBB1_16
; %bb.15:
	v_mov_b32_e32 v7, 0
	ds_load_2addr_b32 v[2:3], v7 offset0:1 offset1:2
	ds_load_2addr_b32 v[4:5], v7 offset0:3 offset1:4
	;; [unrolled: 1-line block ×4, first 2 shown]
	s_wait_dscnt 0x3
	v_add_f32_e32 v1, v1, v2
	s_delay_alu instid0(VALU_DEP_1) | instskip(SKIP_3) | instid1(VALU_DEP_1)
	v_add_f32_e32 v1, v1, v3
	ds_load_2addr_b32 v[2:3], v7 offset0:9 offset1:10
	s_wait_dscnt 0x3
	v_add_f32_e32 v1, v1, v4
	v_add_f32_e32 v1, v1, v5
	ds_load_2addr_b32 v[4:5], v7 offset0:11 offset1:12
	s_wait_dscnt 0x3
	v_add_f32_e32 v1, v1, v8
	s_delay_alu instid0(VALU_DEP_1) | instskip(SKIP_1) | instid1(VALU_DEP_1)
	v_add_f32_e32 v1, v1, v9
	s_wait_dscnt 0x2
	v_add_f32_e32 v1, v1, v10
	s_delay_alu instid0(VALU_DEP_1) | instskip(SKIP_4) | instid1(VALU_DEP_1)
	v_add_f32_e32 v1, v1, v11
	ds_load_2addr_b32 v[8:9], v7 offset0:13 offset1:14
	ds_load_2addr_b32 v[10:11], v7 offset0:15 offset1:16
	s_wait_dscnt 0x3
	v_add_f32_e32 v1, v1, v2
	v_add_f32_e32 v1, v1, v3
	ds_load_2addr_b32 v[2:3], v7 offset0:17 offset1:18
	s_wait_dscnt 0x3
	v_add_f32_e32 v1, v1, v4
	s_delay_alu instid0(VALU_DEP_1) | instskip(SKIP_3) | instid1(VALU_DEP_1)
	v_add_f32_e32 v1, v1, v5
	ds_load_2addr_b32 v[4:5], v7 offset0:19 offset1:20
	s_wait_dscnt 0x3
	v_add_f32_e32 v1, v1, v8
	v_add_f32_e32 v1, v1, v9
	s_wait_dscnt 0x2
	s_delay_alu instid0(VALU_DEP_1) | instskip(NEXT) | instid1(VALU_DEP_1)
	v_add_f32_e32 v1, v1, v10
	v_add_f32_e32 v1, v1, v11
	ds_load_2addr_b32 v[8:9], v7 offset0:21 offset1:22
	ds_load_2addr_b32 v[10:11], v7 offset0:23 offset1:24
	s_wait_dscnt 0x3
	v_add_f32_e32 v1, v1, v2
	s_delay_alu instid0(VALU_DEP_1) | instskip(SKIP_3) | instid1(VALU_DEP_1)
	v_add_f32_e32 v1, v1, v3
	ds_load_2addr_b32 v[2:3], v7 offset0:25 offset1:26
	s_wait_dscnt 0x3
	v_add_f32_e32 v1, v1, v4
	v_add_f32_e32 v1, v1, v5
	ds_load_2addr_b32 v[4:5], v7 offset0:27 offset1:28
	s_wait_dscnt 0x3
	v_add_f32_e32 v1, v1, v8
	s_delay_alu instid0(VALU_DEP_1) | instskip(SKIP_1) | instid1(VALU_DEP_1)
	v_add_f32_e32 v1, v1, v9
	s_wait_dscnt 0x2
	v_add_f32_e32 v1, v1, v10
	ds_load_2addr_b32 v[8:9], v7 offset0:29 offset1:30
	ds_load_b32 v10, v7 offset:124
	v_add_f32_e32 v1, v1, v11
	s_wait_dscnt 0x3
	s_delay_alu instid0(VALU_DEP_1) | instskip(NEXT) | instid1(VALU_DEP_1)
	v_add_f32_e32 v1, v1, v2
	v_add_f32_e32 v1, v1, v3
	s_wait_dscnt 0x2
	s_delay_alu instid0(VALU_DEP_1) | instskip(NEXT) | instid1(VALU_DEP_1)
	v_add_f32_e32 v1, v1, v4
	v_add_f32_e32 v1, v1, v5
	s_wait_dscnt 0x1
	s_delay_alu instid0(VALU_DEP_1) | instskip(NEXT) | instid1(VALU_DEP_1)
	v_add_f32_e32 v1, v1, v8
	v_add_f32_e32 v1, v1, v9
	s_wait_dscnt 0x0
	s_delay_alu instid0(VALU_DEP_1)
	v_add_f32_e32 v1, v1, v10
	ds_store_b32 v7, v1
.LBB1_16:
	s_or_b32 exec_lo, exec_lo, s1
	s_wait_dscnt 0x0
	s_barrier_signal -1
	s_barrier_wait -1
	s_and_saveexec_b32 s0, vcc_lo
	s_cbranch_execz .LBB1_24
; %bb.17:
	s_mul_u64 s[0:1], s[8:9], s[20:21]
	s_mov_b32 s5, 0
	s_lshl_b64 s[0:1], s[0:1], 2
	s_mov_b32 s4, exec_lo
	s_add_nc_u64 s[0:1], s[6:7], s[0:1]
	s_load_b32 s0, s[0:1], 0x0
	s_wait_kmcnt 0x0
	s_xor_b32 s0, s0, 0x80000000
	v_mov_b32_e32 v5, 0
	ds_load_b32 v1, v5
	s_wait_dscnt 0x0
	v_mul_f32_e32 v2, s0, v1
	s_mov_b32 s0, -1
	v_cmpx_lt_u32_e32 0x3ff, v6
	s_cbranch_execz .LBB1_21
; %bb.18:
	v_dual_lshrrev_b32 v1, 10, v6 :: v_dual_lshlrev_b32 v4, 2, v0
	s_lshl_b64 s[0:1], s[2:3], 2
	s_lshl_b64 s[6:7], s[16:17], 2
	s_add_nc_u64 s[0:1], s[10:11], s[0:1]
	s_delay_alu instid0(VALU_DEP_1) | instskip(SKIP_3) | instid1(VALU_DEP_3)
	v_dual_mov_b32 v3, v2 :: v_dual_add_nc_u32 v8, 1, v1
	v_or_b32_e32 v1, 0x400, v0
	v_add3_u32 v10, v4, 0, 0x80
	s_add_nc_u64 s[0:1], s[0:1], s[6:7]
	v_and_b32_e32 v9, 0x7ffffe, v8
	s_lshl_b64 s[6:7], s[18:19], 2
	v_mov_b64_e32 v[6:7], v[0:1]
	s_add_nc_u64 s[0:1], s[0:1], s[6:7]
	s_delay_alu instid0(VALU_DEP_2)
	v_mov_b32_e32 v11, v9
.LBB1_19:                               ; =>This Inner Loop Header: Depth=1
	s_delay_alu instid0(VALU_DEP_1) | instskip(SKIP_1) | instid1(VALU_DEP_2)
	v_dual_mov_b32 v4, v6 :: v_dual_add_nc_u32 v11, -2, v11
	v_add_nc_u32_e32 v6, 0x800, v6
	v_lshl_add_u64 v[12:13], v[4:5], 2, s[0:1]
	v_dual_mov_b32 v4, v7 :: v_dual_add_nc_u32 v7, 0x800, v7
	s_delay_alu instid0(VALU_DEP_4) | instskip(NEXT) | instid1(VALU_DEP_2)
	v_cmp_eq_u32_e32 vcc_lo, 0, v11
	v_lshl_add_u64 v[14:15], v[4:5], 2, s[0:1]
	s_clause 0x1
	global_load_b32 v16, v[12:13], off
	global_load_b32 v17, v[14:15], off
	ds_load_2addr_stride64_b32 v[18:19], v10 offset1:16
	v_add_nc_u32_e32 v10, 0x2000, v10
	s_or_b32 s5, vcc_lo, s5
	s_wait_loadcnt_dscnt 0x0
	v_pk_fma_f32 v[16:17], v[2:3], v[18:19], v[16:17]
	s_clause 0x1
	global_store_b32 v[12:13], v16, off
	global_store_b32 v[14:15], v17, off
	s_wait_xcnt 0x0
	s_and_not1_b32 exec_lo, exec_lo, s5
	s_cbranch_execnz .LBB1_19
; %bb.20:
	s_or_b32 exec_lo, exec_lo, s5
	v_cmp_ne_u32_e32 vcc_lo, v8, v9
	v_lshl_or_b32 v0, v9, 10, v0
	s_or_not1_b32 s0, vcc_lo, exec_lo
.LBB1_21:
	s_or_b32 exec_lo, exec_lo, s4
	s_delay_alu instid0(SALU_CYCLE_1)
	s_and_b32 exec_lo, exec_lo, s0
	s_cbranch_execz .LBB1_24
; %bb.22:
	s_lshl_b64 s[0:1], s[2:3], 2
	s_lshl_b64 s[2:3], s[18:19], 2
	v_dual_lshlrev_b32 v3, 2, v0 :: v_dual_mov_b32 v1, 0
	s_add_nc_u64 s[0:1], s[0:1], s[2:3]
	s_lshl_b64 s[2:3], s[16:17], 2
	s_delay_alu instid0(SALU_CYCLE_1) | instskip(NEXT) | instid1(VALU_DEP_1)
	s_add_nc_u64 s[0:1], s[0:1], s[2:3]
	v_add3_u32 v3, v3, 0, 0x80
	s_add_nc_u64 s[0:1], s[10:11], s[0:1]
	s_delay_alu instid0(SALU_CYCLE_1)
	v_lshl_add_u64 v[4:5], v[0:1], 2, s[0:1]
	s_mov_b32 s0, 0
.LBB1_23:                               ; =>This Inner Loop Header: Depth=1
	global_load_b32 v1, v[4:5], off
	ds_load_b32 v6, v3
	v_add_nc_u32_e32 v0, 0x400, v0
	v_add_nc_u32_e32 v3, 0x1000, v3
	s_wait_loadcnt_dscnt 0x0
	v_fmac_f32_e32 v1, v2, v6
	s_delay_alu instid0(VALU_DEP_3) | instskip(SKIP_4) | instid1(SALU_CYCLE_1)
	v_cmp_le_i32_e32 vcc_lo, s30, v0
	global_store_b32 v[4:5], v1, off
	s_wait_xcnt 0x0
	v_add_nc_u64_e32 v[4:5], 0x1000, v[4:5]
	s_or_b32 s0, vcc_lo, s0
	s_and_not1_b32 exec_lo, exec_lo, s0
	s_cbranch_execnz .LBB1_23
.LBB1_24:
	s_endpgm
	.section	.rodata,"a",@progbits
	.p2align	6, 0x0
	.amdhsa_kernel _ZN9rocsolver6v33100L16larf_left_kernelILi1024EfiPfEEvT1_S3_T2_lS3_lPKT0_lS4_lS3_l
		.amdhsa_group_segment_fixed_size 0
		.amdhsa_private_segment_fixed_size 0
		.amdhsa_kernarg_size 88
		.amdhsa_user_sgpr_count 2
		.amdhsa_user_sgpr_dispatch_ptr 0
		.amdhsa_user_sgpr_queue_ptr 0
		.amdhsa_user_sgpr_kernarg_segment_ptr 1
		.amdhsa_user_sgpr_dispatch_id 0
		.amdhsa_user_sgpr_kernarg_preload_length 0
		.amdhsa_user_sgpr_kernarg_preload_offset 0
		.amdhsa_user_sgpr_private_segment_size 0
		.amdhsa_wavefront_size32 1
		.amdhsa_uses_dynamic_stack 0
		.amdhsa_enable_private_segment 0
		.amdhsa_system_sgpr_workgroup_id_x 1
		.amdhsa_system_sgpr_workgroup_id_y 1
		.amdhsa_system_sgpr_workgroup_id_z 1
		.amdhsa_system_sgpr_workgroup_info 0
		.amdhsa_system_vgpr_workitem_id 0
		.amdhsa_next_free_vgpr 20
		.amdhsa_next_free_sgpr 36
		.amdhsa_named_barrier_count 0
		.amdhsa_reserve_vcc 1
		.amdhsa_float_round_mode_32 0
		.amdhsa_float_round_mode_16_64 0
		.amdhsa_float_denorm_mode_32 3
		.amdhsa_float_denorm_mode_16_64 3
		.amdhsa_fp16_overflow 0
		.amdhsa_memory_ordered 1
		.amdhsa_forward_progress 1
		.amdhsa_inst_pref_size 16
		.amdhsa_round_robin_scheduling 0
		.amdhsa_exception_fp_ieee_invalid_op 0
		.amdhsa_exception_fp_denorm_src 0
		.amdhsa_exception_fp_ieee_div_zero 0
		.amdhsa_exception_fp_ieee_overflow 0
		.amdhsa_exception_fp_ieee_underflow 0
		.amdhsa_exception_fp_ieee_inexact 0
		.amdhsa_exception_int_div_zero 0
	.end_amdhsa_kernel
	.section	.text._ZN9rocsolver6v33100L16larf_left_kernelILi1024EfiPfEEvT1_S3_T2_lS3_lPKT0_lS4_lS3_l,"axG",@progbits,_ZN9rocsolver6v33100L16larf_left_kernelILi1024EfiPfEEvT1_S3_T2_lS3_lPKT0_lS4_lS3_l,comdat
.Lfunc_end1:
	.size	_ZN9rocsolver6v33100L16larf_left_kernelILi1024EfiPfEEvT1_S3_T2_lS3_lPKT0_lS4_lS3_l, .Lfunc_end1-_ZN9rocsolver6v33100L16larf_left_kernelILi1024EfiPfEEvT1_S3_T2_lS3_lPKT0_lS4_lS3_l
                                        ; -- End function
	.set _ZN9rocsolver6v33100L16larf_left_kernelILi1024EfiPfEEvT1_S3_T2_lS3_lPKT0_lS4_lS3_l.num_vgpr, 20
	.set _ZN9rocsolver6v33100L16larf_left_kernelILi1024EfiPfEEvT1_S3_T2_lS3_lPKT0_lS4_lS3_l.num_agpr, 0
	.set _ZN9rocsolver6v33100L16larf_left_kernelILi1024EfiPfEEvT1_S3_T2_lS3_lPKT0_lS4_lS3_l.numbered_sgpr, 36
	.set _ZN9rocsolver6v33100L16larf_left_kernelILi1024EfiPfEEvT1_S3_T2_lS3_lPKT0_lS4_lS3_l.num_named_barrier, 0
	.set _ZN9rocsolver6v33100L16larf_left_kernelILi1024EfiPfEEvT1_S3_T2_lS3_lPKT0_lS4_lS3_l.private_seg_size, 0
	.set _ZN9rocsolver6v33100L16larf_left_kernelILi1024EfiPfEEvT1_S3_T2_lS3_lPKT0_lS4_lS3_l.uses_vcc, 1
	.set _ZN9rocsolver6v33100L16larf_left_kernelILi1024EfiPfEEvT1_S3_T2_lS3_lPKT0_lS4_lS3_l.uses_flat_scratch, 0
	.set _ZN9rocsolver6v33100L16larf_left_kernelILi1024EfiPfEEvT1_S3_T2_lS3_lPKT0_lS4_lS3_l.has_dyn_sized_stack, 0
	.set _ZN9rocsolver6v33100L16larf_left_kernelILi1024EfiPfEEvT1_S3_T2_lS3_lPKT0_lS4_lS3_l.has_recursion, 0
	.set _ZN9rocsolver6v33100L16larf_left_kernelILi1024EfiPfEEvT1_S3_T2_lS3_lPKT0_lS4_lS3_l.has_indirect_call, 0
	.section	.AMDGPU.csdata,"",@progbits
; Kernel info:
; codeLenInByte = 2024
; TotalNumSgprs: 38
; NumVgprs: 20
; ScratchSize: 0
; MemoryBound: 0
; FloatMode: 240
; IeeeMode: 1
; LDSByteSize: 0 bytes/workgroup (compile time only)
; SGPRBlocks: 0
; VGPRBlocks: 1
; NumSGPRsForWavesPerEU: 38
; NumVGPRsForWavesPerEU: 20
; NamedBarCnt: 0
; Occupancy: 16
; WaveLimiterHint : 0
; COMPUTE_PGM_RSRC2:SCRATCH_EN: 0
; COMPUTE_PGM_RSRC2:USER_SGPR: 2
; COMPUTE_PGM_RSRC2:TRAP_HANDLER: 0
; COMPUTE_PGM_RSRC2:TGID_X_EN: 1
; COMPUTE_PGM_RSRC2:TGID_Y_EN: 1
; COMPUTE_PGM_RSRC2:TGID_Z_EN: 1
; COMPUTE_PGM_RSRC2:TIDIG_COMP_CNT: 0
	.section	.text._ZN9rocsolver6v33100L17larf_right_kernelILi1024EfiPfEEvT1_S3_T2_lS3_lPKT0_lS4_lS3_l,"axG",@progbits,_ZN9rocsolver6v33100L17larf_right_kernelILi1024EfiPfEEvT1_S3_T2_lS3_lPKT0_lS4_lS3_l,comdat
	.globl	_ZN9rocsolver6v33100L17larf_right_kernelILi1024EfiPfEEvT1_S3_T2_lS3_lPKT0_lS4_lS3_l ; -- Begin function _ZN9rocsolver6v33100L17larf_right_kernelILi1024EfiPfEEvT1_S3_T2_lS3_lPKT0_lS4_lS3_l
	.p2align	8
	.type	_ZN9rocsolver6v33100L17larf_right_kernelILi1024EfiPfEEvT1_S3_T2_lS3_lPKT0_lS4_lS3_l,@function
_ZN9rocsolver6v33100L17larf_right_kernelILi1024EfiPfEEvT1_S3_T2_lS3_lPKT0_lS4_lS3_l: ; @_ZN9rocsolver6v33100L17larf_right_kernelILi1024EfiPfEEvT1_S3_T2_lS3_lPKT0_lS4_lS3_l
; %bb.0:
	s_clause 0x3
	s_load_b32 s19, s[0:1], 0x4
	s_load_b96 s[16:18], s[0:1], 0x40
	s_load_b64 s[12:13], s[0:1], 0x50
	s_load_b256 s[4:11], s[0:1], 0x20
	s_bfe_u32 s2, ttmp6, 0x40010
	s_bfe_u32 s21, ttmp6, 0x40014
	s_and_b32 s14, ttmp7, 0xffff
	s_lshr_b32 s20, ttmp7, 16
	s_add_co_i32 s2, s2, 1
	s_add_co_i32 s21, s21, 1
	s_bfe_u32 s15, ttmp6, 0x40004
	s_bfe_u32 s22, ttmp6, 0x40008
	s_mul_i32 s2, s14, s2
	s_mul_i32 s21, s20, s21
	s_getreg_b32 s23, hwreg(HW_REG_IB_STS2, 6, 4)
	s_add_co_i32 s15, s15, s2
	s_add_co_i32 s22, s22, s21
	s_cmp_eq_u32 s23, 0
	v_mov_b32_e32 v1, 0
	s_mov_b32 s3, 0
	s_cselect_b32 s2, s20, s22
	s_wait_kmcnt 0x0
	v_cmp_gt_i32_e32 vcc_lo, s19, v0
	s_cselect_b32 s30, s14, s15
	s_mul_u64 s[20:21], s[12:13], s[2:3]
	s_and_saveexec_b32 s31, vcc_lo
	s_cbranch_execz .LBB2_12
; %bb.1:
	s_clause 0x1
	s_load_b32 s22, s[0:1], 0x18
	s_load_b128 s[12:15], s[0:1], 0x8
	s_sub_co_i32 s24, 1, s19
	v_xad_u32 v1, v0, -1, s19
	v_lshl_add_u32 v6, v0, 2, 0x80
	v_mov_b32_e32 v2, v0
	s_mul_u64 s[4:5], s[4:5], s[2:3]
	s_mov_b32 s26, -1
                                        ; implicit-def: $vgpr7
	s_wait_kmcnt 0x0
	s_ashr_i32 s23, s22, 31
	s_mul_i32 s24, s22, s24
	v_cmp_lt_i64_e64 s1, s[22:23], 1
	s_and_b32 s1, s1, exec_lo
	s_cselect_b32 s24, s24, 0
	s_mov_b32 s1, exec_lo
	s_ashr_i32 s25, s24, 31
	v_cmpx_lt_u32_e32 0x3ff, v1
	s_cbranch_execz .LBB2_5
; %bb.2:
	v_dual_lshrrev_b32 v1, 10, v1 :: v_dual_mov_b32 v3, 0
	v_lshl_add_u32 v7, v0, 2, 0x80
	s_lshl_b64 s[26:27], s[4:5], 2
	s_lshl_b64 s[28:29], s[14:15], 2
	s_delay_alu instid0(VALU_DEP_2)
	v_add_nc_u32_e32 v8, 1, v1
	v_or_b32_e32 v1, 0x400, v0
	v_add_nc_u32_e32 v10, 0, v7
	s_add_nc_u64 s[26:27], s[12:13], s[26:27]
	s_lshl_b64 s[34:35], s[24:25], 2
	v_and_b32_e32 v9, 0x7ffffe, v8
	v_mov_b64_e32 v[4:5], v[0:1]
	s_add_nc_u64 s[26:27], s[26:27], s[28:29]
	s_mov_b32 s28, s22
	s_add_nc_u64 s[26:27], s[26:27], s[34:35]
	v_mov_b32_e32 v11, v9
	s_mov_b32 s29, s23
	s_mov_b32 s33, 0
.LBB2_3:                                ; =>This Inner Loop Header: Depth=1
	v_dual_mov_b32 v2, v4 :: v_dual_mov_b32 v12, v5
	s_delay_alu instid0(VALU_DEP_2) | instskip(SKIP_1) | instid1(VALU_DEP_3)
	v_dual_mov_b32 v13, v3 :: v_dual_add_nc_u32 v11, -2, v11
	v_add_nc_u32_e32 v5, 0x800, v5
	v_mul_u64_e32 v[14:15], s[22:23], v[2:3]
	v_add_nc_u32_e32 v4, 0x800, v4
	s_delay_alu instid0(VALU_DEP_4)
	v_mul_u64_e32 v[12:13], s[28:29], v[12:13]
	v_cmp_eq_u32_e64 s0, 0, v11
	s_or_b32 s33, s0, s33
	v_lshl_add_u64 v[14:15], v[14:15], 2, s[26:27]
	v_lshl_add_u64 v[12:13], v[12:13], 2, s[26:27]
	s_clause 0x1
	global_load_b32 v1, v[14:15], off
	global_load_b32 v2, v[12:13], off
	s_wait_loadcnt 0x0
	ds_store_2addr_stride64_b32 v10, v1, v2 offset1:16
	v_add_nc_u32_e32 v10, 0x2000, v10
	s_wait_xcnt 0x0
	s_and_not1_b32 exec_lo, exec_lo, s33
	s_cbranch_execnz .LBB2_3
; %bb.4:
	s_or_b32 exec_lo, exec_lo, s33
	v_cmp_ne_u32_e64 s0, v8, v9
	v_lshl_or_b32 v2, v9, 10, v0
	s_or_not1_b32 s26, s0, exec_lo
.LBB2_5:
	s_or_b32 exec_lo, exec_lo, s1
	s_and_saveexec_b32 s1, s26
	s_cbranch_execz .LBB2_9
; %bb.6:
	v_dual_mov_b32 v3, 0 :: v_dual_lshlrev_b32 v1, 2, v2
	s_lshl_b64 s[24:25], s[24:25], 2
	s_lshl_b64 s[14:15], s[14:15], 2
	s_add_nc_u64 s[12:13], s[12:13], s[24:25]
	s_delay_alu instid0(VALU_DEP_1)
	v_mul_u64_e32 v[4:5], s[22:23], v[2:3]
	s_lshl_b64 s[4:5], s[4:5], 2
	s_add_nc_u64 s[12:13], s[12:13], s[14:15]
	v_add3_u32 v1, v1, 0, 0x80
	s_add_nc_u64 s[4:5], s[12:13], s[4:5]
	s_mov_b32 s12, 0
	s_delay_alu instid0(VALU_DEP_2)
	v_lshl_add_u64 v[4:5], v[4:5], 2, s[4:5]
	s_lshl_b64 s[4:5], s[22:23], 12
.LBB2_7:                                ; =>This Inner Loop Header: Depth=1
	global_load_b32 v3, v[4:5], off
	v_add_nc_u32_e32 v2, 0x400, v2
	s_wait_xcnt 0x0
	v_add_nc_u64_e32 v[4:5], s[4:5], v[4:5]
	s_delay_alu instid0(VALU_DEP_2)
	v_cmp_le_i32_e64 s0, s19, v2
	s_or_b32 s12, s0, s12
	s_wait_loadcnt 0x0
	ds_store_b32 v1, v3
	v_add_nc_u32_e32 v1, 0x1000, v1
	s_and_not1_b32 exec_lo, exec_lo, s12
	s_cbranch_execnz .LBB2_7
; %bb.8:
	s_or_b32 exec_lo, exec_lo, s12
	v_mov_b32_e32 v7, v6
.LBB2_9:
	s_or_b32 exec_lo, exec_lo, s1
	s_delay_alu instid0(VALU_DEP_1) | instskip(SKIP_3) | instid1(VALU_DEP_1)
	v_dual_mov_b32 v1, 0 :: v_dual_add_nc_u32 v4, 0, v7
	s_ashr_i32 s5, s18, 31
	s_mov_b32 s4, s18
	s_mov_b32 s1, 0
	v_mul_u64_e32 v[2:3], s[4:5], v[0:1]
	s_lshl_b32 s0, s30, 2
	s_lshl_b64 s[12:13], s[16:17], 2
	s_add_nc_u64 s[14:15], s[10:11], s[0:1]
	s_lshl_b64 s[22:23], s[20:21], 2
	s_add_nc_u64 s[12:13], s[14:15], s[12:13]
	v_mov_b32_e32 v5, v0
	s_add_nc_u64 s[12:13], s[12:13], s[22:23]
	s_lshl_b64 s[4:5], s[4:5], 12
	s_delay_alu instid0(VALU_DEP_2)
	v_lshl_add_u64 v[2:3], v[2:3], 2, s[12:13]
.LBB2_10:                               ; =>This Inner Loop Header: Depth=1
	global_load_b32 v6, v[2:3], off
	ds_load_b32 v7, v4
	v_add_nc_u32_e32 v5, 0x400, v5
	s_wait_xcnt 0x0
	v_add_nc_u64_e32 v[2:3], s[4:5], v[2:3]
	v_add_nc_u32_e32 v4, 0x1000, v4
	s_delay_alu instid0(VALU_DEP_3)
	v_cmp_le_i32_e64 s0, s19, v5
	s_or_b32 s1, s0, s1
	s_wait_loadcnt_dscnt 0x0
	v_fmac_f32_e32 v1, v6, v7
	s_and_not1_b32 exec_lo, exec_lo, s1
	s_cbranch_execnz .LBB2_10
; %bb.11:
	s_or_b32 exec_lo, exec_lo, s1
.LBB2_12:
	s_delay_alu instid0(SALU_CYCLE_1) | instskip(SKIP_2) | instid1(VALU_DEP_1)
	s_or_b32 exec_lo, exec_lo, s31
	v_mbcnt_lo_u32_b32 v2, -1, 0
	s_mov_b32 s1, exec_lo
	v_cmp_ne_u32_e64 s0, 31, v2
	s_delay_alu instid0(VALU_DEP_1) | instskip(SKIP_1) | instid1(VALU_DEP_2)
	v_add_co_ci_u32_e64 v3, null, 0, v2, s0
	v_cmp_gt_u32_e64 s0, 30, v2
	v_lshlrev_b32_e32 v3, 2, v3
	s_delay_alu instid0(VALU_DEP_2)
	v_cndmask_b32_e64 v4, 0, 2, s0
	v_cmp_gt_u32_e64 s0, 28, v2
	ds_bpermute_b32 v3, v3, v1
	v_add_lshl_u32 v4, v4, v2, 2
	s_wait_dscnt 0x0
	v_add_f32_e32 v1, v1, v3
	ds_bpermute_b32 v3, v4, v1
	v_cndmask_b32_e64 v4, 0, 4, s0
	v_cmp_gt_u32_e64 s0, 24, v2
	s_delay_alu instid0(VALU_DEP_2) | instskip(SKIP_4) | instid1(VALU_DEP_1)
	v_add_lshl_u32 v4, v4, v2, 2
	s_wait_dscnt 0x0
	v_add_f32_e32 v1, v1, v3
	ds_bpermute_b32 v3, v4, v1
	v_cndmask_b32_e64 v4, 0, 8, s0
	v_add_lshl_u32 v4, v4, v2, 2
	v_lshl_or_b32 v2, v2, 2, 64
	s_wait_dscnt 0x0
	v_add_f32_e32 v1, v1, v3
	ds_bpermute_b32 v3, v4, v1
	s_wait_dscnt 0x0
	v_dual_add_f32 v1, v1, v3 :: v_dual_bitop2_b32 v3, 31, v0 bitop3:0x40
	ds_bpermute_b32 v2, v2, v1
	s_wait_dscnt 0x0
	v_add_f32_e32 v1, v1, v2
	v_cmpx_eq_u32_e32 0, v3
; %bb.13:
	v_lshrrev_b32_e32 v2, 3, v0
	s_delay_alu instid0(VALU_DEP_1)
	v_add_nc_u32_e32 v2, 0, v2
	ds_store_b32 v2, v1
; %bb.14:
	s_or_b32 exec_lo, exec_lo, s1
	s_delay_alu instid0(SALU_CYCLE_1)
	s_mov_b32 s1, exec_lo
	s_wait_dscnt 0x0
	s_barrier_signal -1
	s_barrier_wait -1
	v_cmpx_eq_u32_e32 0, v0
	s_cbranch_execz .LBB2_16
; %bb.15:
	v_mov_b32_e32 v10, 0
	ds_load_2addr_b32 v[2:3], v10 offset0:1 offset1:2
	ds_load_2addr_b32 v[4:5], v10 offset0:3 offset1:4
	;; [unrolled: 1-line block ×4, first 2 shown]
	s_wait_dscnt 0x3
	v_add_f32_e32 v1, v1, v2
	s_delay_alu instid0(VALU_DEP_1) | instskip(SKIP_3) | instid1(VALU_DEP_1)
	v_add_f32_e32 v1, v1, v3
	ds_load_2addr_b32 v[2:3], v10 offset0:9 offset1:10
	s_wait_dscnt 0x3
	v_add_f32_e32 v1, v1, v4
	v_add_f32_e32 v1, v1, v5
	ds_load_2addr_b32 v[4:5], v10 offset0:11 offset1:12
	s_wait_dscnt 0x3
	v_add_f32_e32 v1, v1, v6
	s_delay_alu instid0(VALU_DEP_1) | instskip(SKIP_1) | instid1(VALU_DEP_1)
	v_add_f32_e32 v1, v1, v7
	s_wait_dscnt 0x2
	v_add_f32_e32 v1, v1, v8
	s_delay_alu instid0(VALU_DEP_1) | instskip(SKIP_4) | instid1(VALU_DEP_1)
	v_add_f32_e32 v1, v1, v9
	ds_load_2addr_b32 v[6:7], v10 offset0:13 offset1:14
	ds_load_2addr_b32 v[8:9], v10 offset0:15 offset1:16
	s_wait_dscnt 0x3
	v_add_f32_e32 v1, v1, v2
	v_add_f32_e32 v1, v1, v3
	ds_load_2addr_b32 v[2:3], v10 offset0:17 offset1:18
	s_wait_dscnt 0x3
	v_add_f32_e32 v1, v1, v4
	s_delay_alu instid0(VALU_DEP_1) | instskip(SKIP_3) | instid1(VALU_DEP_1)
	v_add_f32_e32 v1, v1, v5
	ds_load_2addr_b32 v[4:5], v10 offset0:19 offset1:20
	s_wait_dscnt 0x3
	v_add_f32_e32 v1, v1, v6
	v_add_f32_e32 v1, v1, v7
	s_wait_dscnt 0x2
	s_delay_alu instid0(VALU_DEP_1) | instskip(NEXT) | instid1(VALU_DEP_1)
	v_add_f32_e32 v1, v1, v8
	v_add_f32_e32 v1, v1, v9
	ds_load_2addr_b32 v[6:7], v10 offset0:21 offset1:22
	ds_load_2addr_b32 v[8:9], v10 offset0:23 offset1:24
	s_wait_dscnt 0x3
	v_add_f32_e32 v1, v1, v2
	s_delay_alu instid0(VALU_DEP_1) | instskip(SKIP_3) | instid1(VALU_DEP_1)
	v_add_f32_e32 v1, v1, v3
	ds_load_2addr_b32 v[2:3], v10 offset0:25 offset1:26
	s_wait_dscnt 0x3
	v_add_f32_e32 v1, v1, v4
	v_add_f32_e32 v1, v1, v5
	ds_load_2addr_b32 v[4:5], v10 offset0:27 offset1:28
	s_wait_dscnt 0x3
	v_add_f32_e32 v1, v1, v6
	s_delay_alu instid0(VALU_DEP_1) | instskip(SKIP_1) | instid1(VALU_DEP_1)
	v_add_f32_e32 v1, v1, v7
	s_wait_dscnt 0x2
	v_add_f32_e32 v1, v1, v8
	ds_load_2addr_b32 v[6:7], v10 offset0:29 offset1:30
	ds_load_b32 v8, v10 offset:124
	v_add_f32_e32 v1, v1, v9
	s_wait_dscnt 0x3
	s_delay_alu instid0(VALU_DEP_1) | instskip(NEXT) | instid1(VALU_DEP_1)
	v_add_f32_e32 v1, v1, v2
	v_add_f32_e32 v1, v1, v3
	s_wait_dscnt 0x2
	s_delay_alu instid0(VALU_DEP_1) | instskip(NEXT) | instid1(VALU_DEP_1)
	v_add_f32_e32 v1, v1, v4
	;; [unrolled: 4-line block ×3, first 2 shown]
	v_add_f32_e32 v1, v1, v7
	s_wait_dscnt 0x0
	s_delay_alu instid0(VALU_DEP_1)
	v_add_f32_e32 v1, v1, v8
	ds_store_b32 v10, v1
.LBB2_16:
	s_or_b32 exec_lo, exec_lo, s1
	s_wait_dscnt 0x0
	s_barrier_signal -1
	s_barrier_wait -1
	s_and_saveexec_b32 s0, vcc_lo
	s_cbranch_execz .LBB2_19
; %bb.17:
	v_dual_mov_b32 v1, 0 :: v_dual_lshlrev_b32 v4, 2, v0
	s_mul_u64 s[0:1], s[8:9], s[2:3]
	s_ashr_i32 s3, s18, 31
	s_mov_b32 s2, s18
	s_lshl_b64 s[0:1], s[0:1], 2
	v_mul_u64_e32 v[2:3], s[2:3], v[0:1]
	s_add_nc_u64 s[0:1], s[6:7], s[0:1]
	ds_load_b32 v1, v1
	s_load_b32 s0, s[0:1], 0x0
	s_wait_xcnt 0x0
	s_mov_b32 s1, 0
	s_lshl_b64 s[4:5], s[16:17], 2
	s_lshl_b64 s[8:9], s[20:21], 2
	v_add3_u32 v4, v4, 0, 0x80
	s_lshl_b64 s[2:3], s[2:3], 12
	s_wait_kmcnt 0x0
	s_xor_b32 s12, s0, 0x80000000
	s_lshl_b32 s0, s30, 2
	s_wait_dscnt 0x0
	v_mul_f32_e32 v1, s12, v1
	s_add_nc_u64 s[6:7], s[10:11], s[0:1]
	s_delay_alu instid0(SALU_CYCLE_1) | instskip(NEXT) | instid1(SALU_CYCLE_1)
	s_add_nc_u64 s[4:5], s[6:7], s[4:5]
	s_add_nc_u64 s[4:5], s[4:5], s[8:9]
	s_delay_alu instid0(SALU_CYCLE_1)
	v_lshl_add_u64 v[2:3], v[2:3], 2, s[4:5]
.LBB2_18:                               ; =>This Inner Loop Header: Depth=1
	global_load_b32 v5, v[2:3], off
	ds_load_b32 v6, v4
	v_add_nc_u32_e32 v0, 0x400, v0
	s_wait_loadcnt_dscnt 0x0
	v_dual_fmac_f32 v5, v1, v6 :: v_dual_add_nc_u32 v4, 0x1000, v4
	s_delay_alu instid0(VALU_DEP_2) | instskip(SKIP_4) | instid1(SALU_CYCLE_1)
	v_cmp_le_i32_e32 vcc_lo, s19, v0
	global_store_b32 v[2:3], v5, off
	s_wait_xcnt 0x0
	v_add_nc_u64_e32 v[2:3], s[2:3], v[2:3]
	s_or_b32 s1, vcc_lo, s1
	s_and_not1_b32 exec_lo, exec_lo, s1
	s_cbranch_execnz .LBB2_18
.LBB2_19:
	s_endpgm
	.section	.rodata,"a",@progbits
	.p2align	6, 0x0
	.amdhsa_kernel _ZN9rocsolver6v33100L17larf_right_kernelILi1024EfiPfEEvT1_S3_T2_lS3_lPKT0_lS4_lS3_l
		.amdhsa_group_segment_fixed_size 0
		.amdhsa_private_segment_fixed_size 0
		.amdhsa_kernarg_size 88
		.amdhsa_user_sgpr_count 2
		.amdhsa_user_sgpr_dispatch_ptr 0
		.amdhsa_user_sgpr_queue_ptr 0
		.amdhsa_user_sgpr_kernarg_segment_ptr 1
		.amdhsa_user_sgpr_dispatch_id 0
		.amdhsa_user_sgpr_kernarg_preload_length 0
		.amdhsa_user_sgpr_kernarg_preload_offset 0
		.amdhsa_user_sgpr_private_segment_size 0
		.amdhsa_wavefront_size32 1
		.amdhsa_uses_dynamic_stack 0
		.amdhsa_enable_private_segment 0
		.amdhsa_system_sgpr_workgroup_id_x 1
		.amdhsa_system_sgpr_workgroup_id_y 1
		.amdhsa_system_sgpr_workgroup_id_z 1
		.amdhsa_system_sgpr_workgroup_info 0
		.amdhsa_system_vgpr_workitem_id 0
		.amdhsa_next_free_vgpr 16
		.amdhsa_next_free_sgpr 36
		.amdhsa_named_barrier_count 0
		.amdhsa_reserve_vcc 1
		.amdhsa_float_round_mode_32 0
		.amdhsa_float_round_mode_16_64 0
		.amdhsa_float_denorm_mode_32 3
		.amdhsa_float_denorm_mode_16_64 3
		.amdhsa_fp16_overflow 0
		.amdhsa_memory_ordered 1
		.amdhsa_forward_progress 1
		.amdhsa_inst_pref_size 14
		.amdhsa_round_robin_scheduling 0
		.amdhsa_exception_fp_ieee_invalid_op 0
		.amdhsa_exception_fp_denorm_src 0
		.amdhsa_exception_fp_ieee_div_zero 0
		.amdhsa_exception_fp_ieee_overflow 0
		.amdhsa_exception_fp_ieee_underflow 0
		.amdhsa_exception_fp_ieee_inexact 0
		.amdhsa_exception_int_div_zero 0
	.end_amdhsa_kernel
	.section	.text._ZN9rocsolver6v33100L17larf_right_kernelILi1024EfiPfEEvT1_S3_T2_lS3_lPKT0_lS4_lS3_l,"axG",@progbits,_ZN9rocsolver6v33100L17larf_right_kernelILi1024EfiPfEEvT1_S3_T2_lS3_lPKT0_lS4_lS3_l,comdat
.Lfunc_end2:
	.size	_ZN9rocsolver6v33100L17larf_right_kernelILi1024EfiPfEEvT1_S3_T2_lS3_lPKT0_lS4_lS3_l, .Lfunc_end2-_ZN9rocsolver6v33100L17larf_right_kernelILi1024EfiPfEEvT1_S3_T2_lS3_lPKT0_lS4_lS3_l
                                        ; -- End function
	.set _ZN9rocsolver6v33100L17larf_right_kernelILi1024EfiPfEEvT1_S3_T2_lS3_lPKT0_lS4_lS3_l.num_vgpr, 16
	.set _ZN9rocsolver6v33100L17larf_right_kernelILi1024EfiPfEEvT1_S3_T2_lS3_lPKT0_lS4_lS3_l.num_agpr, 0
	.set _ZN9rocsolver6v33100L17larf_right_kernelILi1024EfiPfEEvT1_S3_T2_lS3_lPKT0_lS4_lS3_l.numbered_sgpr, 36
	.set _ZN9rocsolver6v33100L17larf_right_kernelILi1024EfiPfEEvT1_S3_T2_lS3_lPKT0_lS4_lS3_l.num_named_barrier, 0
	.set _ZN9rocsolver6v33100L17larf_right_kernelILi1024EfiPfEEvT1_S3_T2_lS3_lPKT0_lS4_lS3_l.private_seg_size, 0
	.set _ZN9rocsolver6v33100L17larf_right_kernelILi1024EfiPfEEvT1_S3_T2_lS3_lPKT0_lS4_lS3_l.uses_vcc, 1
	.set _ZN9rocsolver6v33100L17larf_right_kernelILi1024EfiPfEEvT1_S3_T2_lS3_lPKT0_lS4_lS3_l.uses_flat_scratch, 0
	.set _ZN9rocsolver6v33100L17larf_right_kernelILi1024EfiPfEEvT1_S3_T2_lS3_lPKT0_lS4_lS3_l.has_dyn_sized_stack, 0
	.set _ZN9rocsolver6v33100L17larf_right_kernelILi1024EfiPfEEvT1_S3_T2_lS3_lPKT0_lS4_lS3_l.has_recursion, 0
	.set _ZN9rocsolver6v33100L17larf_right_kernelILi1024EfiPfEEvT1_S3_T2_lS3_lPKT0_lS4_lS3_l.has_indirect_call, 0
	.section	.AMDGPU.csdata,"",@progbits
; Kernel info:
; codeLenInByte = 1732
; TotalNumSgprs: 38
; NumVgprs: 16
; ScratchSize: 0
; MemoryBound: 0
; FloatMode: 240
; IeeeMode: 1
; LDSByteSize: 0 bytes/workgroup (compile time only)
; SGPRBlocks: 0
; VGPRBlocks: 0
; NumSGPRsForWavesPerEU: 38
; NumVGPRsForWavesPerEU: 16
; NamedBarCnt: 0
; Occupancy: 16
; WaveLimiterHint : 0
; COMPUTE_PGM_RSRC2:SCRATCH_EN: 0
; COMPUTE_PGM_RSRC2:USER_SGPR: 2
; COMPUTE_PGM_RSRC2:TRAP_HANDLER: 0
; COMPUTE_PGM_RSRC2:TGID_X_EN: 1
; COMPUTE_PGM_RSRC2:TGID_Y_EN: 1
; COMPUTE_PGM_RSRC2:TGID_Z_EN: 1
; COMPUTE_PGM_RSRC2:TIDIG_COMP_CNT: 0
	.section	.text._ZN9rocsolver6v33100L6iota_nIdEEvPT_jS2_,"axG",@progbits,_ZN9rocsolver6v33100L6iota_nIdEEvPT_jS2_,comdat
	.globl	_ZN9rocsolver6v33100L6iota_nIdEEvPT_jS2_ ; -- Begin function _ZN9rocsolver6v33100L6iota_nIdEEvPT_jS2_
	.p2align	8
	.type	_ZN9rocsolver6v33100L6iota_nIdEEvPT_jS2_,@function
_ZN9rocsolver6v33100L6iota_nIdEEvPT_jS2_: ; @_ZN9rocsolver6v33100L6iota_nIdEEvPT_jS2_
; %bb.0:
	s_load_b32 s2, s[0:1], 0x8
	s_wait_kmcnt 0x0
	v_cmp_gt_u32_e32 vcc_lo, s2, v0
	s_and_saveexec_b32 s2, vcc_lo
	s_cbranch_execz .LBB3_2
; %bb.1:
	v_cvt_f64_u32_e32 v[2:3], v0
	s_load_b64 s[2:3], s[0:1], 0x10
	s_wait_kmcnt 0x0
	s_delay_alu instid0(VALU_DEP_1)
	v_add_f64_e32 v[2:3], s[2:3], v[2:3]
	s_load_b64 s[0:1], s[0:1], 0x0
	s_wait_kmcnt 0x0
	global_store_b64 v0, v[2:3], s[0:1] scale_offset
.LBB3_2:
	s_endpgm
	.section	.rodata,"a",@progbits
	.p2align	6, 0x0
	.amdhsa_kernel _ZN9rocsolver6v33100L6iota_nIdEEvPT_jS2_
		.amdhsa_group_segment_fixed_size 0
		.amdhsa_private_segment_fixed_size 0
		.amdhsa_kernarg_size 24
		.amdhsa_user_sgpr_count 2
		.amdhsa_user_sgpr_dispatch_ptr 0
		.amdhsa_user_sgpr_queue_ptr 0
		.amdhsa_user_sgpr_kernarg_segment_ptr 1
		.amdhsa_user_sgpr_dispatch_id 0
		.amdhsa_user_sgpr_kernarg_preload_length 0
		.amdhsa_user_sgpr_kernarg_preload_offset 0
		.amdhsa_user_sgpr_private_segment_size 0
		.amdhsa_wavefront_size32 1
		.amdhsa_uses_dynamic_stack 0
		.amdhsa_enable_private_segment 0
		.amdhsa_system_sgpr_workgroup_id_x 1
		.amdhsa_system_sgpr_workgroup_id_y 0
		.amdhsa_system_sgpr_workgroup_id_z 0
		.amdhsa_system_sgpr_workgroup_info 0
		.amdhsa_system_vgpr_workitem_id 0
		.amdhsa_next_free_vgpr 4
		.amdhsa_next_free_sgpr 4
		.amdhsa_named_barrier_count 0
		.amdhsa_reserve_vcc 1
		.amdhsa_float_round_mode_32 0
		.amdhsa_float_round_mode_16_64 0
		.amdhsa_float_denorm_mode_32 3
		.amdhsa_float_denorm_mode_16_64 3
		.amdhsa_fp16_overflow 0
		.amdhsa_memory_ordered 1
		.amdhsa_forward_progress 1
		.amdhsa_inst_pref_size 1
		.amdhsa_round_robin_scheduling 0
		.amdhsa_exception_fp_ieee_invalid_op 0
		.amdhsa_exception_fp_denorm_src 0
		.amdhsa_exception_fp_ieee_div_zero 0
		.amdhsa_exception_fp_ieee_overflow 0
		.amdhsa_exception_fp_ieee_underflow 0
		.amdhsa_exception_fp_ieee_inexact 0
		.amdhsa_exception_int_div_zero 0
	.end_amdhsa_kernel
	.section	.text._ZN9rocsolver6v33100L6iota_nIdEEvPT_jS2_,"axG",@progbits,_ZN9rocsolver6v33100L6iota_nIdEEvPT_jS2_,comdat
.Lfunc_end3:
	.size	_ZN9rocsolver6v33100L6iota_nIdEEvPT_jS2_, .Lfunc_end3-_ZN9rocsolver6v33100L6iota_nIdEEvPT_jS2_
                                        ; -- End function
	.set _ZN9rocsolver6v33100L6iota_nIdEEvPT_jS2_.num_vgpr, 4
	.set _ZN9rocsolver6v33100L6iota_nIdEEvPT_jS2_.num_agpr, 0
	.set _ZN9rocsolver6v33100L6iota_nIdEEvPT_jS2_.numbered_sgpr, 4
	.set _ZN9rocsolver6v33100L6iota_nIdEEvPT_jS2_.num_named_barrier, 0
	.set _ZN9rocsolver6v33100L6iota_nIdEEvPT_jS2_.private_seg_size, 0
	.set _ZN9rocsolver6v33100L6iota_nIdEEvPT_jS2_.uses_vcc, 1
	.set _ZN9rocsolver6v33100L6iota_nIdEEvPT_jS2_.uses_flat_scratch, 0
	.set _ZN9rocsolver6v33100L6iota_nIdEEvPT_jS2_.has_dyn_sized_stack, 0
	.set _ZN9rocsolver6v33100L6iota_nIdEEvPT_jS2_.has_recursion, 0
	.set _ZN9rocsolver6v33100L6iota_nIdEEvPT_jS2_.has_indirect_call, 0
	.section	.AMDGPU.csdata,"",@progbits
; Kernel info:
; codeLenInByte = 76
; TotalNumSgprs: 6
; NumVgprs: 4
; ScratchSize: 0
; MemoryBound: 0
; FloatMode: 240
; IeeeMode: 1
; LDSByteSize: 0 bytes/workgroup (compile time only)
; SGPRBlocks: 0
; VGPRBlocks: 0
; NumSGPRsForWavesPerEU: 6
; NumVGPRsForWavesPerEU: 4
; NamedBarCnt: 0
; Occupancy: 16
; WaveLimiterHint : 0
; COMPUTE_PGM_RSRC2:SCRATCH_EN: 0
; COMPUTE_PGM_RSRC2:USER_SGPR: 2
; COMPUTE_PGM_RSRC2:TRAP_HANDLER: 0
; COMPUTE_PGM_RSRC2:TGID_X_EN: 1
; COMPUTE_PGM_RSRC2:TGID_Y_EN: 0
; COMPUTE_PGM_RSRC2:TGID_Z_EN: 0
; COMPUTE_PGM_RSRC2:TIDIG_COMP_CNT: 0
	.section	.text._ZN9rocsolver6v33100L16larf_left_kernelILi1024EdiPdEEvT1_S3_T2_lS3_lPKT0_lS4_lS3_l,"axG",@progbits,_ZN9rocsolver6v33100L16larf_left_kernelILi1024EdiPdEEvT1_S3_T2_lS3_lPKT0_lS4_lS3_l,comdat
	.globl	_ZN9rocsolver6v33100L16larf_left_kernelILi1024EdiPdEEvT1_S3_T2_lS3_lPKT0_lS4_lS3_l ; -- Begin function _ZN9rocsolver6v33100L16larf_left_kernelILi1024EdiPdEEvT1_S3_T2_lS3_lPKT0_lS4_lS3_l
	.p2align	8
	.type	_ZN9rocsolver6v33100L16larf_left_kernelILi1024EdiPdEEvT1_S3_T2_lS3_lPKT0_lS4_lS3_l,@function
_ZN9rocsolver6v33100L16larf_left_kernelILi1024EdiPdEEvT1_S3_T2_lS3_lPKT0_lS4_lS3_l: ; @_ZN9rocsolver6v33100L16larf_left_kernelILi1024EdiPdEEvT1_S3_T2_lS3_lPKT0_lS4_lS3_l
; %bb.0:
	s_clause 0x3
	s_load_b96 s[12:14], s[0:1], 0x40
	s_load_b64 s[16:17], s[0:1], 0x50
	s_load_b32 s18, s[0:1], 0x0
	s_load_b256 s[4:11], s[0:1], 0x20
	s_bfe_u32 s2, ttmp6, 0x40010
	s_bfe_u32 s20, ttmp6, 0x40014
	s_and_b32 s15, ttmp7, 0xffff
	s_lshr_b32 s22, ttmp7, 16
	s_add_co_i32 s2, s2, 1
	s_add_co_i32 s20, s20, 1
	s_bfe_u32 s19, ttmp6, 0x40004
	s_bfe_u32 s21, ttmp6, 0x40008
	s_mul_i32 s2, s15, s2
	s_mul_i32 s20, s22, s20
	s_getreg_b32 s23, hwreg(HW_REG_IB_STS2, 6, 4)
	v_mov_b64_e32 v[4:5], 0
	s_add_co_i32 s19, s19, s2
	s_add_co_i32 s2, s21, s20
	s_mov_b32 s3, 0
	v_lshlrev_b32_e32 v2, 3, v0
	s_wait_kmcnt 0x0
	s_ashr_i32 s21, s14, 31
	s_cmp_eq_u32 s23, 0
	v_cmp_gt_i32_e32 vcc_lo, s18, v0
	s_mov_b32 s20, s14
	s_cselect_b32 s2, s22, s2
	s_cselect_b32 s22, s15, s19
	s_mov_b32 s23, s3
	s_mul_u64 s[14:15], s[16:17], s[2:3]
	s_mul_u64 s[16:17], s[22:23], s[20:21]
	s_and_saveexec_b32 s19, vcc_lo
	s_cbranch_execz .LBB4_6
; %bb.1:
	s_clause 0x1
	s_load_b32 s24, s[0:1], 0x18
	s_load_b128 s[20:23], s[0:1], 0x8
	v_dual_mov_b32 v1, 0 :: v_dual_mov_b32 v6, v0
	s_wait_xcnt 0x0
	s_sub_co_i32 s1, 1, s18
	s_mul_u64 s[4:5], s[4:5], s[2:3]
	s_wait_kmcnt 0x0
	s_ashr_i32 s25, s24, 31
	s_mul_i32 s1, s24, s1
	v_mul_u64_e32 v[4:5], s[24:25], v[0:1]
	v_cmp_lt_i64_e64 s0, s[24:25], 1
	v_add3_u32 v1, v2, 0, 0x100
	s_delay_alu instid0(VALU_DEP_1)
	v_mov_b32_e32 v3, v1
	s_and_b32 s0, s0, exec_lo
	s_cselect_b32 s0, s1, 0
	s_lshl_b64 s[22:23], s[22:23], 3
	s_ashr_i32 s1, s0, 31
	s_lshl_b64 s[4:5], s[4:5], 3
	s_lshl_b64 s[0:1], s[0:1], 3
	s_delay_alu instid0(SALU_CYCLE_1) | instskip(NEXT) | instid1(SALU_CYCLE_1)
	s_add_nc_u64 s[0:1], s[20:21], s[0:1]
	s_add_nc_u64 s[0:1], s[0:1], s[22:23]
	s_delay_alu instid0(SALU_CYCLE_1)
	s_add_nc_u64 s[0:1], s[0:1], s[4:5]
	s_lshl_b64 s[4:5], s[24:25], 13
	v_lshl_add_u64 v[4:5], v[4:5], 3, s[0:1]
	s_mov_b32 s1, s3
.LBB4_2:                                ; =>This Inner Loop Header: Depth=1
	global_load_b64 v[8:9], v[4:5], off
	v_add_nc_u32_e32 v6, 0x400, v6
	s_wait_xcnt 0x0
	v_add_nc_u64_e32 v[4:5], s[4:5], v[4:5]
	s_delay_alu instid0(VALU_DEP_2)
	v_cmp_le_i32_e64 s0, s18, v6
	s_or_b32 s1, s0, s1
	s_wait_loadcnt 0x0
	ds_store_b64 v3, v[8:9]
	v_add_nc_u32_e32 v3, 0x2000, v3
	s_and_not1_b32 exec_lo, exec_lo, s1
	s_cbranch_execnz .LBB4_2
; %bb.3:
	s_or_b32 exec_lo, exec_lo, s1
	s_lshl_b64 s[0:1], s[14:15], 3
	s_lshl_b64 s[4:5], s[16:17], 3
	v_dual_mov_b32 v5, 0 :: v_dual_lshlrev_b32 v4, 3, v0
	s_add_nc_u64 s[0:1], s[0:1], s[4:5]
	s_lshl_b64 s[4:5], s[12:13], 3
	v_mov_b32_e32 v3, v0
	s_add_nc_u64 s[0:1], s[0:1], s[4:5]
	s_delay_alu instid0(SALU_CYCLE_1) | instskip(NEXT) | instid1(SALU_CYCLE_1)
	s_add_nc_u64 s[0:1], s[10:11], s[0:1]
	v_add_nc_u64_e32 v[6:7], s[0:1], v[4:5]
	v_mov_b64_e32 v[4:5], 0
	s_mov_b32 s1, 0
.LBB4_4:                                ; =>This Inner Loop Header: Depth=1
	global_load_b64 v[8:9], v[6:7], off
	ds_load_b64 v[10:11], v1
	v_add_nc_u32_e32 v3, 0x400, v3
	s_wait_xcnt 0x0
	v_add_nc_u64_e32 v[6:7], 0x2000, v[6:7]
	v_add_nc_u32_e32 v1, 0x2000, v1
	s_delay_alu instid0(VALU_DEP_3)
	v_cmp_le_i32_e64 s0, s18, v3
	s_or_b32 s1, s0, s1
	s_wait_loadcnt_dscnt 0x0
	v_fmac_f64_e32 v[4:5], v[8:9], v[10:11]
	s_and_not1_b32 exec_lo, exec_lo, s1
	s_cbranch_execnz .LBB4_4
; %bb.5:
	s_or_b32 exec_lo, exec_lo, s1
.LBB4_6:
	s_delay_alu instid0(SALU_CYCLE_1) | instskip(SKIP_2) | instid1(VALU_DEP_1)
	s_or_b32 exec_lo, exec_lo, s19
	v_mbcnt_lo_u32_b32 v1, -1, 0
	s_mov_b32 s1, exec_lo
	v_cmp_ne_u32_e64 s0, 31, v1
	s_delay_alu instid0(VALU_DEP_1) | instskip(SKIP_1) | instid1(VALU_DEP_2)
	v_add_co_ci_u32_e64 v3, null, 0, v1, s0
	v_cmp_gt_u32_e64 s0, 30, v1
	v_lshlrev_b32_e32 v3, 2, v3
	ds_bpermute_b32 v6, v3, v4
	ds_bpermute_b32 v7, v3, v5
	v_cndmask_b32_e64 v3, 0, 2, s0
	v_cmp_gt_u32_e64 s0, 28, v1
	s_delay_alu instid0(VALU_DEP_2)
	v_add_lshl_u32 v3, v3, v1, 2
	s_wait_dscnt 0x0
	v_add_f64_e32 v[4:5], v[4:5], v[6:7]
	ds_bpermute_b32 v6, v3, v4
	ds_bpermute_b32 v7, v3, v5
	v_cndmask_b32_e64 v3, 0, 4, s0
	v_cmp_gt_u32_e64 s0, 24, v1
	s_delay_alu instid0(VALU_DEP_2)
	v_add_lshl_u32 v3, v3, v1, 2
	s_wait_dscnt 0x0
	v_add_f64_e32 v[4:5], v[4:5], v[6:7]
	ds_bpermute_b32 v6, v3, v4
	ds_bpermute_b32 v7, v3, v5
	v_cndmask_b32_e64 v3, 0, 8, s0
	s_delay_alu instid0(VALU_DEP_1)
	v_add_lshl_u32 v3, v3, v1, 2
	v_lshl_or_b32 v1, v1, 2, 64
	s_wait_dscnt 0x0
	v_add_f64_e32 v[4:5], v[4:5], v[6:7]
	ds_bpermute_b32 v6, v3, v4
	ds_bpermute_b32 v7, v3, v5
	s_wait_dscnt 0x0
	v_add_f64_e32 v[4:5], v[4:5], v[6:7]
	ds_bpermute_b32 v6, v1, v4
	ds_bpermute_b32 v7, v1, v5
	s_wait_dscnt 0x0
	v_dual_add_f64 v[4:5], v[4:5], v[6:7] :: v_dual_bitop2_b32 v1, 31, v0 bitop3:0x40
	s_delay_alu instid0(VALU_DEP_1)
	v_cmpx_eq_u32_e32 0, v1
; %bb.7:
	v_lshrrev_b32_e32 v1, 2, v0
	s_delay_alu instid0(VALU_DEP_1)
	v_add_nc_u32_e32 v1, 0, v1
	ds_store_b64 v1, v[4:5]
; %bb.8:
	s_or_b32 exec_lo, exec_lo, s1
	s_delay_alu instid0(SALU_CYCLE_1)
	s_mov_b32 s1, exec_lo
	s_wait_dscnt 0x0
	s_barrier_signal -1
	s_barrier_wait -1
	v_cmpx_eq_u32_e32 0, v0
	s_cbranch_execz .LBB4_10
; %bb.9:
	v_mov_b32_e32 v1, 0
	ds_load_2addr_b64 v[6:9], v1 offset0:1 offset1:2
	ds_load_2addr_b64 v[10:13], v1 offset0:3 offset1:4
	s_wait_dscnt 0x1
	v_add_f64_e32 v[4:5], v[4:5], v[6:7]
	s_delay_alu instid0(VALU_DEP_1) | instskip(SKIP_1) | instid1(VALU_DEP_1)
	v_add_f64_e32 v[4:5], v[4:5], v[8:9]
	s_wait_dscnt 0x0
	v_add_f64_e32 v[4:5], v[4:5], v[10:11]
	s_delay_alu instid0(VALU_DEP_1) | instskip(SKIP_4) | instid1(VALU_DEP_1)
	v_add_f64_e32 v[12:13], v[4:5], v[12:13]
	ds_load_2addr_b64 v[4:7], v1 offset0:5 offset1:6
	ds_load_2addr_b64 v[8:11], v1 offset0:7 offset1:8
	s_wait_dscnt 0x1
	v_add_f64_e32 v[4:5], v[12:13], v[4:5]
	v_add_f64_e32 v[4:5], v[4:5], v[6:7]
	s_wait_dscnt 0x0
	s_delay_alu instid0(VALU_DEP_1) | instskip(NEXT) | instid1(VALU_DEP_1)
	v_add_f64_e32 v[4:5], v[4:5], v[8:9]
	v_add_f64_e32 v[12:13], v[4:5], v[10:11]
	ds_load_2addr_b64 v[4:7], v1 offset0:9 offset1:10
	ds_load_2addr_b64 v[8:11], v1 offset0:11 offset1:12
	s_wait_dscnt 0x1
	v_add_f64_e32 v[4:5], v[12:13], v[4:5]
	s_delay_alu instid0(VALU_DEP_1) | instskip(SKIP_1) | instid1(VALU_DEP_1)
	v_add_f64_e32 v[4:5], v[4:5], v[6:7]
	s_wait_dscnt 0x0
	v_add_f64_e32 v[4:5], v[4:5], v[8:9]
	s_delay_alu instid0(VALU_DEP_1) | instskip(SKIP_4) | instid1(VALU_DEP_1)
	v_add_f64_e32 v[12:13], v[4:5], v[10:11]
	ds_load_2addr_b64 v[4:7], v1 offset0:13 offset1:14
	ds_load_2addr_b64 v[8:11], v1 offset0:15 offset1:16
	s_wait_dscnt 0x1
	v_add_f64_e32 v[4:5], v[12:13], v[4:5]
	v_add_f64_e32 v[4:5], v[4:5], v[6:7]
	s_wait_dscnt 0x0
	s_delay_alu instid0(VALU_DEP_1) | instskip(NEXT) | instid1(VALU_DEP_1)
	v_add_f64_e32 v[4:5], v[4:5], v[8:9]
	v_add_f64_e32 v[12:13], v[4:5], v[10:11]
	;; [unrolled: 19-line block ×3, first 2 shown]
	ds_load_2addr_b64 v[4:7], v1 offset0:25 offset1:26
	ds_load_2addr_b64 v[8:11], v1 offset0:27 offset1:28
	s_wait_dscnt 0x1
	v_add_f64_e32 v[4:5], v[12:13], v[4:5]
	s_delay_alu instid0(VALU_DEP_1) | instskip(SKIP_1) | instid1(VALU_DEP_1)
	v_add_f64_e32 v[4:5], v[4:5], v[6:7]
	s_wait_dscnt 0x0
	v_add_f64_e32 v[4:5], v[4:5], v[8:9]
	s_delay_alu instid0(VALU_DEP_1) | instskip(SKIP_4) | instid1(VALU_DEP_1)
	v_add_f64_e32 v[8:9], v[4:5], v[10:11]
	ds_load_2addr_b64 v[4:7], v1 offset0:29 offset1:30
	ds_load_b64 v[10:11], v1 offset:248
	s_wait_dscnt 0x1
	v_add_f64_e32 v[4:5], v[8:9], v[4:5]
	v_add_f64_e32 v[4:5], v[4:5], v[6:7]
	s_wait_dscnt 0x0
	s_delay_alu instid0(VALU_DEP_1)
	v_add_f64_e32 v[4:5], v[4:5], v[10:11]
	ds_store_b64 v1, v[4:5]
.LBB4_10:
	s_or_b32 exec_lo, exec_lo, s1
	s_wait_dscnt 0x0
	s_barrier_signal -1
	s_barrier_wait -1
	s_and_saveexec_b32 s0, vcc_lo
	s_cbranch_execz .LBB4_13
; %bb.11:
	s_mul_u64 s[0:1], s[8:9], s[2:3]
	v_mov_b32_e32 v3, 0
	s_lshl_b64 s[0:1], s[0:1], 3
	s_lshl_b64 s[2:3], s[16:17], 3
	s_add_nc_u64 s[0:1], s[6:7], s[0:1]
	v_add3_u32 v1, v2, 0, 0x100
	s_load_b64 s[0:1], s[0:1], 0x0
	ds_load_b64 v[4:5], v3
	s_wait_dscnt 0x0
	s_wait_kmcnt 0x0
	v_mul_f64_e64 v[4:5], v[4:5], -s[0:1]
	s_lshl_b64 s[0:1], s[14:15], 3
	s_delay_alu instid0(SALU_CYCLE_1) | instskip(SKIP_1) | instid1(SALU_CYCLE_1)
	s_add_nc_u64 s[0:1], s[0:1], s[2:3]
	s_lshl_b64 s[2:3], s[12:13], 3
	s_add_nc_u64 s[0:1], s[0:1], s[2:3]
	s_delay_alu instid0(SALU_CYCLE_1) | instskip(NEXT) | instid1(SALU_CYCLE_1)
	s_add_nc_u64 s[0:1], s[10:11], s[0:1]
	v_add_nc_u64_e32 v[6:7], s[0:1], v[2:3]
	s_mov_b32 s0, 0
.LBB4_12:                               ; =>This Inner Loop Header: Depth=1
	global_load_b64 v[2:3], v[6:7], off
	ds_load_b64 v[8:9], v1
	v_add_nc_u32_e32 v0, 0x400, v0
	v_add_nc_u32_e32 v1, 0x2000, v1
	s_delay_alu instid0(VALU_DEP_2)
	v_cmp_le_i32_e32 vcc_lo, s18, v0
	s_or_b32 s0, vcc_lo, s0
	s_wait_loadcnt_dscnt 0x0
	v_fmac_f64_e32 v[2:3], v[4:5], v[8:9]
	global_store_b64 v[6:7], v[2:3], off
	s_wait_xcnt 0x0
	v_add_nc_u64_e32 v[6:7], 0x2000, v[6:7]
	s_and_not1_b32 exec_lo, exec_lo, s0
	s_cbranch_execnz .LBB4_12
.LBB4_13:
	s_endpgm
	.section	.rodata,"a",@progbits
	.p2align	6, 0x0
	.amdhsa_kernel _ZN9rocsolver6v33100L16larf_left_kernelILi1024EdiPdEEvT1_S3_T2_lS3_lPKT0_lS4_lS3_l
		.amdhsa_group_segment_fixed_size 0
		.amdhsa_private_segment_fixed_size 0
		.amdhsa_kernarg_size 88
		.amdhsa_user_sgpr_count 2
		.amdhsa_user_sgpr_dispatch_ptr 0
		.amdhsa_user_sgpr_queue_ptr 0
		.amdhsa_user_sgpr_kernarg_segment_ptr 1
		.amdhsa_user_sgpr_dispatch_id 0
		.amdhsa_user_sgpr_kernarg_preload_length 0
		.amdhsa_user_sgpr_kernarg_preload_offset 0
		.amdhsa_user_sgpr_private_segment_size 0
		.amdhsa_wavefront_size32 1
		.amdhsa_uses_dynamic_stack 0
		.amdhsa_enable_private_segment 0
		.amdhsa_system_sgpr_workgroup_id_x 1
		.amdhsa_system_sgpr_workgroup_id_y 1
		.amdhsa_system_sgpr_workgroup_id_z 1
		.amdhsa_system_sgpr_workgroup_info 0
		.amdhsa_system_vgpr_workitem_id 0
		.amdhsa_next_free_vgpr 14
		.amdhsa_next_free_sgpr 26
		.amdhsa_named_barrier_count 0
		.amdhsa_reserve_vcc 1
		.amdhsa_float_round_mode_32 0
		.amdhsa_float_round_mode_16_64 0
		.amdhsa_float_denorm_mode_32 3
		.amdhsa_float_denorm_mode_16_64 3
		.amdhsa_fp16_overflow 0
		.amdhsa_memory_ordered 1
		.amdhsa_forward_progress 1
		.amdhsa_inst_pref_size 12
		.amdhsa_round_robin_scheduling 0
		.amdhsa_exception_fp_ieee_invalid_op 0
		.amdhsa_exception_fp_denorm_src 0
		.amdhsa_exception_fp_ieee_div_zero 0
		.amdhsa_exception_fp_ieee_overflow 0
		.amdhsa_exception_fp_ieee_underflow 0
		.amdhsa_exception_fp_ieee_inexact 0
		.amdhsa_exception_int_div_zero 0
	.end_amdhsa_kernel
	.section	.text._ZN9rocsolver6v33100L16larf_left_kernelILi1024EdiPdEEvT1_S3_T2_lS3_lPKT0_lS4_lS3_l,"axG",@progbits,_ZN9rocsolver6v33100L16larf_left_kernelILi1024EdiPdEEvT1_S3_T2_lS3_lPKT0_lS4_lS3_l,comdat
.Lfunc_end4:
	.size	_ZN9rocsolver6v33100L16larf_left_kernelILi1024EdiPdEEvT1_S3_T2_lS3_lPKT0_lS4_lS3_l, .Lfunc_end4-_ZN9rocsolver6v33100L16larf_left_kernelILi1024EdiPdEEvT1_S3_T2_lS3_lPKT0_lS4_lS3_l
                                        ; -- End function
	.set _ZN9rocsolver6v33100L16larf_left_kernelILi1024EdiPdEEvT1_S3_T2_lS3_lPKT0_lS4_lS3_l.num_vgpr, 14
	.set _ZN9rocsolver6v33100L16larf_left_kernelILi1024EdiPdEEvT1_S3_T2_lS3_lPKT0_lS4_lS3_l.num_agpr, 0
	.set _ZN9rocsolver6v33100L16larf_left_kernelILi1024EdiPdEEvT1_S3_T2_lS3_lPKT0_lS4_lS3_l.numbered_sgpr, 26
	.set _ZN9rocsolver6v33100L16larf_left_kernelILi1024EdiPdEEvT1_S3_T2_lS3_lPKT0_lS4_lS3_l.num_named_barrier, 0
	.set _ZN9rocsolver6v33100L16larf_left_kernelILi1024EdiPdEEvT1_S3_T2_lS3_lPKT0_lS4_lS3_l.private_seg_size, 0
	.set _ZN9rocsolver6v33100L16larf_left_kernelILi1024EdiPdEEvT1_S3_T2_lS3_lPKT0_lS4_lS3_l.uses_vcc, 1
	.set _ZN9rocsolver6v33100L16larf_left_kernelILi1024EdiPdEEvT1_S3_T2_lS3_lPKT0_lS4_lS3_l.uses_flat_scratch, 0
	.set _ZN9rocsolver6v33100L16larf_left_kernelILi1024EdiPdEEvT1_S3_T2_lS3_lPKT0_lS4_lS3_l.has_dyn_sized_stack, 0
	.set _ZN9rocsolver6v33100L16larf_left_kernelILi1024EdiPdEEvT1_S3_T2_lS3_lPKT0_lS4_lS3_l.has_recursion, 0
	.set _ZN9rocsolver6v33100L16larf_left_kernelILi1024EdiPdEEvT1_S3_T2_lS3_lPKT0_lS4_lS3_l.has_indirect_call, 0
	.section	.AMDGPU.csdata,"",@progbits
; Kernel info:
; codeLenInByte = 1440
; TotalNumSgprs: 28
; NumVgprs: 14
; ScratchSize: 0
; MemoryBound: 0
; FloatMode: 240
; IeeeMode: 1
; LDSByteSize: 0 bytes/workgroup (compile time only)
; SGPRBlocks: 0
; VGPRBlocks: 0
; NumSGPRsForWavesPerEU: 28
; NumVGPRsForWavesPerEU: 14
; NamedBarCnt: 0
; Occupancy: 16
; WaveLimiterHint : 0
; COMPUTE_PGM_RSRC2:SCRATCH_EN: 0
; COMPUTE_PGM_RSRC2:USER_SGPR: 2
; COMPUTE_PGM_RSRC2:TRAP_HANDLER: 0
; COMPUTE_PGM_RSRC2:TGID_X_EN: 1
; COMPUTE_PGM_RSRC2:TGID_Y_EN: 1
; COMPUTE_PGM_RSRC2:TGID_Z_EN: 1
; COMPUTE_PGM_RSRC2:TIDIG_COMP_CNT: 0
	.section	.text._ZN9rocsolver6v33100L17larf_right_kernelILi1024EdiPdEEvT1_S3_T2_lS3_lPKT0_lS4_lS3_l,"axG",@progbits,_ZN9rocsolver6v33100L17larf_right_kernelILi1024EdiPdEEvT1_S3_T2_lS3_lPKT0_lS4_lS3_l,comdat
	.globl	_ZN9rocsolver6v33100L17larf_right_kernelILi1024EdiPdEEvT1_S3_T2_lS3_lPKT0_lS4_lS3_l ; -- Begin function _ZN9rocsolver6v33100L17larf_right_kernelILi1024EdiPdEEvT1_S3_T2_lS3_lPKT0_lS4_lS3_l
	.p2align	8
	.type	_ZN9rocsolver6v33100L17larf_right_kernelILi1024EdiPdEEvT1_S3_T2_lS3_lPKT0_lS4_lS3_l,@function
_ZN9rocsolver6v33100L17larf_right_kernelILi1024EdiPdEEvT1_S3_T2_lS3_lPKT0_lS4_lS3_l: ; @_ZN9rocsolver6v33100L17larf_right_kernelILi1024EdiPdEEvT1_S3_T2_lS3_lPKT0_lS4_lS3_l
; %bb.0:
	s_clause 0x3
	s_load_b32 s15, s[0:1], 0x4
	s_load_b96 s[12:14], s[0:1], 0x40
	s_load_b64 s[16:17], s[0:1], 0x50
	s_load_b256 s[4:11], s[0:1], 0x20
	s_bfe_u32 s2, ttmp6, 0x40010
	s_bfe_u32 s21, ttmp6, 0x40014
	s_and_b32 s18, ttmp7, 0xffff
	s_lshr_b32 s20, ttmp7, 16
	s_add_co_i32 s2, s2, 1
	s_add_co_i32 s21, s21, 1
	s_bfe_u32 s19, ttmp6, 0x40004
	s_bfe_u32 s22, ttmp6, 0x40008
	s_mul_i32 s2, s18, s2
	s_mul_i32 s21, s20, s21
	s_getreg_b32 s23, hwreg(HW_REG_IB_STS2, 6, 4)
	v_mov_b64_e32 v[2:3], 0
	s_add_co_i32 s19, s19, s2
	s_add_co_i32 s22, s22, s21
	s_cmp_eq_u32 s23, 0
	v_lshlrev_b32_e32 v6, 3, v0
	s_mov_b32 s3, 0
	s_wait_kmcnt 0x0
	v_cmp_gt_i32_e32 vcc_lo, s15, v0
	s_cselect_b32 s2, s20, s22
	s_cselect_b32 s18, s18, s19
	s_mul_u64 s[16:17], s[16:17], s[2:3]
	s_and_saveexec_b32 s19, vcc_lo
	s_cbranch_execz .LBB5_6
; %bb.1:
	s_clause 0x1
	s_load_b32 s24, s[0:1], 0x18
	s_load_b128 s[20:23], s[0:1], 0x8
	v_add3_u32 v7, v6, 0, 0x100
	v_mov_b32_e32 v1, 0
	s_wait_xcnt 0x0
	s_sub_co_i32 s1, 1, s15
	s_mul_u64 s[4:5], s[4:5], s[2:3]
	v_dual_mov_b32 v5, v0 :: v_dual_mov_b32 v4, v7
	s_wait_kmcnt 0x0
	s_ashr_i32 s25, s24, 31
	s_mul_i32 s1, s24, s1
	v_mul_u64_e32 v[2:3], s[24:25], v[0:1]
	v_cmp_lt_i64_e64 s0, s[24:25], 1
	s_and_b32 s0, s0, exec_lo
	s_cselect_b32 s0, s1, 0
	s_lshl_b64 s[22:23], s[22:23], 3
	s_ashr_i32 s1, s0, 31
	s_lshl_b64 s[4:5], s[4:5], 3
	s_lshl_b64 s[0:1], s[0:1], 3
	s_delay_alu instid0(SALU_CYCLE_1) | instskip(NEXT) | instid1(SALU_CYCLE_1)
	s_add_nc_u64 s[0:1], s[20:21], s[0:1]
	s_add_nc_u64 s[0:1], s[0:1], s[22:23]
	s_delay_alu instid0(SALU_CYCLE_1)
	s_add_nc_u64 s[0:1], s[0:1], s[4:5]
	s_lshl_b64 s[4:5], s[24:25], 13
	v_lshl_add_u64 v[2:3], v[2:3], 3, s[0:1]
	s_mov_b32 s1, s3
.LBB5_2:                                ; =>This Inner Loop Header: Depth=1
	global_load_b64 v[8:9], v[2:3], off
	v_add_nc_u32_e32 v5, 0x400, v5
	s_wait_xcnt 0x0
	v_add_nc_u64_e32 v[2:3], s[4:5], v[2:3]
	s_delay_alu instid0(VALU_DEP_2)
	v_cmp_le_i32_e64 s0, s15, v5
	s_or_b32 s1, s0, s1
	s_wait_loadcnt 0x0
	ds_store_b64 v4, v[8:9]
	v_add_nc_u32_e32 v4, 0x2000, v4
	s_and_not1_b32 exec_lo, exec_lo, s1
	s_cbranch_execnz .LBB5_2
; %bb.3:
	s_or_b32 exec_lo, exec_lo, s1
	s_ashr_i32 s5, s14, 31
	s_mov_b32 s4, s14
	s_lshl_b32 s0, s18, 3
	v_mul_u64_e32 v[4:5], s[4:5], v[0:1]
	s_mov_b32 s1, 0
	s_lshl_b64 s[20:21], s[12:13], 3
	s_add_nc_u64 s[22:23], s[10:11], s[0:1]
	s_lshl_b64 s[24:25], s[16:17], 3
	s_add_nc_u64 s[20:21], s[22:23], s[20:21]
	v_mov_b64_e32 v[2:3], 0
	s_add_nc_u64 s[20:21], s[20:21], s[24:25]
	v_mov_b32_e32 v1, v0
	s_lshl_b64 s[4:5], s[4:5], 13
	s_delay_alu instid0(VALU_DEP_3)
	v_lshl_add_u64 v[4:5], v[4:5], 3, s[20:21]
.LBB5_4:                                ; =>This Inner Loop Header: Depth=1
	global_load_b64 v[8:9], v[4:5], off
	ds_load_b64 v[10:11], v7
	v_add_nc_u32_e32 v1, 0x400, v1
	s_wait_xcnt 0x0
	v_add_nc_u64_e32 v[4:5], s[4:5], v[4:5]
	v_add_nc_u32_e32 v7, 0x2000, v7
	s_delay_alu instid0(VALU_DEP_3)
	v_cmp_le_i32_e64 s0, s15, v1
	s_or_b32 s1, s0, s1
	s_wait_loadcnt_dscnt 0x0
	v_fmac_f64_e32 v[2:3], v[8:9], v[10:11]
	s_and_not1_b32 exec_lo, exec_lo, s1
	s_cbranch_execnz .LBB5_4
; %bb.5:
	s_or_b32 exec_lo, exec_lo, s1
.LBB5_6:
	s_delay_alu instid0(SALU_CYCLE_1) | instskip(SKIP_2) | instid1(VALU_DEP_1)
	s_or_b32 exec_lo, exec_lo, s19
	v_mbcnt_lo_u32_b32 v1, -1, 0
	s_mov_b32 s1, exec_lo
	v_cmp_ne_u32_e64 s0, 31, v1
	s_delay_alu instid0(VALU_DEP_1) | instskip(SKIP_1) | instid1(VALU_DEP_2)
	v_add_co_ci_u32_e64 v4, null, 0, v1, s0
	v_cmp_gt_u32_e64 s0, 30, v1
	v_lshlrev_b32_e32 v5, 2, v4
	ds_bpermute_b32 v4, v5, v2
	ds_bpermute_b32 v5, v5, v3
	s_wait_dscnt 0x0
	v_add_f64_e32 v[2:3], v[2:3], v[4:5]
	v_cndmask_b32_e64 v4, 0, 2, s0
	v_cmp_gt_u32_e64 s0, 28, v1
	s_delay_alu instid0(VALU_DEP_2)
	v_add_lshl_u32 v5, v4, v1, 2
	ds_bpermute_b32 v4, v5, v2
	ds_bpermute_b32 v5, v5, v3
	s_wait_dscnt 0x0
	v_add_f64_e32 v[2:3], v[2:3], v[4:5]
	v_cndmask_b32_e64 v4, 0, 4, s0
	v_cmp_gt_u32_e64 s0, 24, v1
	s_delay_alu instid0(VALU_DEP_2)
	v_add_lshl_u32 v5, v4, v1, 2
	ds_bpermute_b32 v4, v5, v2
	ds_bpermute_b32 v5, v5, v3
	s_wait_dscnt 0x0
	v_add_f64_e32 v[2:3], v[2:3], v[4:5]
	v_cndmask_b32_e64 v4, 0, 8, s0
	s_delay_alu instid0(VALU_DEP_1)
	v_add_lshl_u32 v5, v4, v1, 2
	v_lshl_or_b32 v1, v1, 2, 64
	ds_bpermute_b32 v4, v5, v2
	ds_bpermute_b32 v5, v5, v3
	s_wait_dscnt 0x0
	v_add_f64_e32 v[2:3], v[2:3], v[4:5]
	ds_bpermute_b32 v4, v1, v2
	ds_bpermute_b32 v5, v1, v3
	v_and_b32_e32 v1, 31, v0
	s_wait_dscnt 0x0
	v_add_f64_e32 v[2:3], v[2:3], v[4:5]
	s_delay_alu instid0(VALU_DEP_2)
	v_cmpx_eq_u32_e32 0, v1
; %bb.7:
	v_lshrrev_b32_e32 v1, 2, v0
	s_delay_alu instid0(VALU_DEP_1)
	v_add_nc_u32_e32 v1, 0, v1
	ds_store_b64 v1, v[2:3]
; %bb.8:
	s_or_b32 exec_lo, exec_lo, s1
	s_delay_alu instid0(SALU_CYCLE_1)
	s_mov_b32 s1, exec_lo
	s_wait_dscnt 0x0
	s_barrier_signal -1
	s_barrier_wait -1
	v_cmpx_eq_u32_e32 0, v0
	s_cbranch_execz .LBB5_10
; %bb.9:
	v_mov_b32_e32 v1, 0
	ds_load_2addr_b64 v[8:11], v1 offset0:1 offset1:2
	ds_load_2addr_b64 v[12:15], v1 offset0:3 offset1:4
	s_wait_dscnt 0x1
	v_add_f64_e32 v[2:3], v[2:3], v[8:9]
	s_delay_alu instid0(VALU_DEP_1) | instskip(SKIP_1) | instid1(VALU_DEP_1)
	v_add_f64_e32 v[2:3], v[2:3], v[10:11]
	s_wait_dscnt 0x0
	v_add_f64_e32 v[2:3], v[2:3], v[12:13]
	s_delay_alu instid0(VALU_DEP_1) | instskip(SKIP_4) | instid1(VALU_DEP_1)
	v_add_f64_e32 v[12:13], v[2:3], v[14:15]
	ds_load_2addr_b64 v[2:5], v1 offset0:5 offset1:6
	ds_load_2addr_b64 v[8:11], v1 offset0:7 offset1:8
	s_wait_dscnt 0x1
	v_add_f64_e32 v[2:3], v[12:13], v[2:3]
	v_add_f64_e32 v[2:3], v[2:3], v[4:5]
	s_wait_dscnt 0x0
	s_delay_alu instid0(VALU_DEP_1) | instskip(NEXT) | instid1(VALU_DEP_1)
	v_add_f64_e32 v[2:3], v[2:3], v[8:9]
	v_add_f64_e32 v[12:13], v[2:3], v[10:11]
	ds_load_2addr_b64 v[2:5], v1 offset0:9 offset1:10
	ds_load_2addr_b64 v[8:11], v1 offset0:11 offset1:12
	s_wait_dscnt 0x1
	v_add_f64_e32 v[2:3], v[12:13], v[2:3]
	s_delay_alu instid0(VALU_DEP_1) | instskip(SKIP_1) | instid1(VALU_DEP_1)
	v_add_f64_e32 v[2:3], v[2:3], v[4:5]
	s_wait_dscnt 0x0
	v_add_f64_e32 v[2:3], v[2:3], v[8:9]
	s_delay_alu instid0(VALU_DEP_1) | instskip(SKIP_4) | instid1(VALU_DEP_1)
	v_add_f64_e32 v[12:13], v[2:3], v[10:11]
	ds_load_2addr_b64 v[2:5], v1 offset0:13 offset1:14
	ds_load_2addr_b64 v[8:11], v1 offset0:15 offset1:16
	s_wait_dscnt 0x1
	v_add_f64_e32 v[2:3], v[12:13], v[2:3]
	v_add_f64_e32 v[2:3], v[2:3], v[4:5]
	s_wait_dscnt 0x0
	s_delay_alu instid0(VALU_DEP_1) | instskip(NEXT) | instid1(VALU_DEP_1)
	v_add_f64_e32 v[2:3], v[2:3], v[8:9]
	v_add_f64_e32 v[12:13], v[2:3], v[10:11]
	;; [unrolled: 19-line block ×3, first 2 shown]
	ds_load_2addr_b64 v[2:5], v1 offset0:25 offset1:26
	ds_load_2addr_b64 v[8:11], v1 offset0:27 offset1:28
	s_wait_dscnt 0x1
	v_add_f64_e32 v[2:3], v[12:13], v[2:3]
	s_delay_alu instid0(VALU_DEP_1) | instskip(SKIP_1) | instid1(VALU_DEP_1)
	v_add_f64_e32 v[2:3], v[2:3], v[4:5]
	s_wait_dscnt 0x0
	v_add_f64_e32 v[2:3], v[2:3], v[8:9]
	s_delay_alu instid0(VALU_DEP_1) | instskip(SKIP_4) | instid1(VALU_DEP_1)
	v_add_f64_e32 v[8:9], v[2:3], v[10:11]
	ds_load_2addr_b64 v[2:5], v1 offset0:29 offset1:30
	ds_load_b64 v[10:11], v1 offset:248
	s_wait_dscnt 0x1
	v_add_f64_e32 v[2:3], v[8:9], v[2:3]
	v_add_f64_e32 v[2:3], v[2:3], v[4:5]
	s_wait_dscnt 0x0
	s_delay_alu instid0(VALU_DEP_1)
	v_add_f64_e32 v[2:3], v[2:3], v[10:11]
	ds_store_b64 v1, v[2:3]
.LBB5_10:
	s_or_b32 exec_lo, exec_lo, s1
	s_wait_dscnt 0x0
	s_barrier_signal -1
	s_barrier_wait -1
	s_and_saveexec_b32 s0, vcc_lo
	s_cbranch_execz .LBB5_13
; %bb.11:
	s_mul_u64 s[0:1], s[8:9], s[2:3]
	v_mov_b32_e32 v1, 0
	s_lshl_b64 s[0:1], s[0:1], 3
	s_ashr_i32 s3, s14, 31
	s_add_nc_u64 s[0:1], s[6:7], s[0:1]
	s_mov_b32 s2, s14
	s_load_b64 s[0:1], s[0:1], 0x0
	ds_load_b64 v[2:3], v1
	v_mul_u64_e32 v[4:5], s[2:3], v[0:1]
	s_lshl_b64 s[4:5], s[12:13], 3
	s_lshl_b64 s[8:9], s[16:17], 3
	v_add3_u32 v1, v6, 0, 0x100
	s_lshl_b64 s[2:3], s[2:3], 13
	s_wait_dscnt 0x0
	s_wait_kmcnt 0x0
	v_mul_f64_e64 v[2:3], v[2:3], -s[0:1]
	s_mov_b32 s1, 0
	s_lshl_b32 s0, s18, 3
	s_delay_alu instid0(SALU_CYCLE_1) | instskip(NEXT) | instid1(SALU_CYCLE_1)
	s_add_nc_u64 s[6:7], s[10:11], s[0:1]
	s_add_nc_u64 s[4:5], s[6:7], s[4:5]
	s_delay_alu instid0(SALU_CYCLE_1)
	s_add_nc_u64 s[4:5], s[4:5], s[8:9]
	s_delay_alu instid0(VALU_DEP_3) | instid1(SALU_CYCLE_1)
	v_lshl_add_u64 v[4:5], v[4:5], 3, s[4:5]
.LBB5_12:                               ; =>This Inner Loop Header: Depth=1
	global_load_b64 v[6:7], v[4:5], off
	ds_load_b64 v[8:9], v1
	v_add_nc_u32_e32 v0, 0x400, v0
	v_add_nc_u32_e32 v1, 0x2000, v1
	s_delay_alu instid0(VALU_DEP_2)
	v_cmp_le_i32_e32 vcc_lo, s15, v0
	s_or_b32 s1, vcc_lo, s1
	s_wait_loadcnt_dscnt 0x0
	v_fmac_f64_e32 v[6:7], v[2:3], v[8:9]
	global_store_b64 v[4:5], v[6:7], off
	s_wait_xcnt 0x0
	v_add_nc_u64_e32 v[4:5], s[2:3], v[4:5]
	s_and_not1_b32 exec_lo, exec_lo, s1
	s_cbranch_execnz .LBB5_12
.LBB5_13:
	s_endpgm
	.section	.rodata,"a",@progbits
	.p2align	6, 0x0
	.amdhsa_kernel _ZN9rocsolver6v33100L17larf_right_kernelILi1024EdiPdEEvT1_S3_T2_lS3_lPKT0_lS4_lS3_l
		.amdhsa_group_segment_fixed_size 0
		.amdhsa_private_segment_fixed_size 0
		.amdhsa_kernarg_size 88
		.amdhsa_user_sgpr_count 2
		.amdhsa_user_sgpr_dispatch_ptr 0
		.amdhsa_user_sgpr_queue_ptr 0
		.amdhsa_user_sgpr_kernarg_segment_ptr 1
		.amdhsa_user_sgpr_dispatch_id 0
		.amdhsa_user_sgpr_kernarg_preload_length 0
		.amdhsa_user_sgpr_kernarg_preload_offset 0
		.amdhsa_user_sgpr_private_segment_size 0
		.amdhsa_wavefront_size32 1
		.amdhsa_uses_dynamic_stack 0
		.amdhsa_enable_private_segment 0
		.amdhsa_system_sgpr_workgroup_id_x 1
		.amdhsa_system_sgpr_workgroup_id_y 1
		.amdhsa_system_sgpr_workgroup_id_z 1
		.amdhsa_system_sgpr_workgroup_info 0
		.amdhsa_system_vgpr_workitem_id 0
		.amdhsa_next_free_vgpr 16
		.amdhsa_next_free_sgpr 26
		.amdhsa_named_barrier_count 0
		.amdhsa_reserve_vcc 1
		.amdhsa_float_round_mode_32 0
		.amdhsa_float_round_mode_16_64 0
		.amdhsa_float_denorm_mode_32 3
		.amdhsa_float_denorm_mode_16_64 3
		.amdhsa_fp16_overflow 0
		.amdhsa_memory_ordered 1
		.amdhsa_forward_progress 1
		.amdhsa_inst_pref_size 12
		.amdhsa_round_robin_scheduling 0
		.amdhsa_exception_fp_ieee_invalid_op 0
		.amdhsa_exception_fp_denorm_src 0
		.amdhsa_exception_fp_ieee_div_zero 0
		.amdhsa_exception_fp_ieee_overflow 0
		.amdhsa_exception_fp_ieee_underflow 0
		.amdhsa_exception_fp_ieee_inexact 0
		.amdhsa_exception_int_div_zero 0
	.end_amdhsa_kernel
	.section	.text._ZN9rocsolver6v33100L17larf_right_kernelILi1024EdiPdEEvT1_S3_T2_lS3_lPKT0_lS4_lS3_l,"axG",@progbits,_ZN9rocsolver6v33100L17larf_right_kernelILi1024EdiPdEEvT1_S3_T2_lS3_lPKT0_lS4_lS3_l,comdat
.Lfunc_end5:
	.size	_ZN9rocsolver6v33100L17larf_right_kernelILi1024EdiPdEEvT1_S3_T2_lS3_lPKT0_lS4_lS3_l, .Lfunc_end5-_ZN9rocsolver6v33100L17larf_right_kernelILi1024EdiPdEEvT1_S3_T2_lS3_lPKT0_lS4_lS3_l
                                        ; -- End function
	.set _ZN9rocsolver6v33100L17larf_right_kernelILi1024EdiPdEEvT1_S3_T2_lS3_lPKT0_lS4_lS3_l.num_vgpr, 16
	.set _ZN9rocsolver6v33100L17larf_right_kernelILi1024EdiPdEEvT1_S3_T2_lS3_lPKT0_lS4_lS3_l.num_agpr, 0
	.set _ZN9rocsolver6v33100L17larf_right_kernelILi1024EdiPdEEvT1_S3_T2_lS3_lPKT0_lS4_lS3_l.numbered_sgpr, 26
	.set _ZN9rocsolver6v33100L17larf_right_kernelILi1024EdiPdEEvT1_S3_T2_lS3_lPKT0_lS4_lS3_l.num_named_barrier, 0
	.set _ZN9rocsolver6v33100L17larf_right_kernelILi1024EdiPdEEvT1_S3_T2_lS3_lPKT0_lS4_lS3_l.private_seg_size, 0
	.set _ZN9rocsolver6v33100L17larf_right_kernelILi1024EdiPdEEvT1_S3_T2_lS3_lPKT0_lS4_lS3_l.uses_vcc, 1
	.set _ZN9rocsolver6v33100L17larf_right_kernelILi1024EdiPdEEvT1_S3_T2_lS3_lPKT0_lS4_lS3_l.uses_flat_scratch, 0
	.set _ZN9rocsolver6v33100L17larf_right_kernelILi1024EdiPdEEvT1_S3_T2_lS3_lPKT0_lS4_lS3_l.has_dyn_sized_stack, 0
	.set _ZN9rocsolver6v33100L17larf_right_kernelILi1024EdiPdEEvT1_S3_T2_lS3_lPKT0_lS4_lS3_l.has_recursion, 0
	.set _ZN9rocsolver6v33100L17larf_right_kernelILi1024EdiPdEEvT1_S3_T2_lS3_lPKT0_lS4_lS3_l.has_indirect_call, 0
	.section	.AMDGPU.csdata,"",@progbits
; Kernel info:
; codeLenInByte = 1444
; TotalNumSgprs: 28
; NumVgprs: 16
; ScratchSize: 0
; MemoryBound: 0
; FloatMode: 240
; IeeeMode: 1
; LDSByteSize: 0 bytes/workgroup (compile time only)
; SGPRBlocks: 0
; VGPRBlocks: 0
; NumSGPRsForWavesPerEU: 28
; NumVGPRsForWavesPerEU: 16
; NamedBarCnt: 0
; Occupancy: 16
; WaveLimiterHint : 0
; COMPUTE_PGM_RSRC2:SCRATCH_EN: 0
; COMPUTE_PGM_RSRC2:USER_SGPR: 2
; COMPUTE_PGM_RSRC2:TRAP_HANDLER: 0
; COMPUTE_PGM_RSRC2:TGID_X_EN: 1
; COMPUTE_PGM_RSRC2:TGID_Y_EN: 1
; COMPUTE_PGM_RSRC2:TGID_Z_EN: 1
; COMPUTE_PGM_RSRC2:TIDIG_COMP_CNT: 0
	.section	.text._ZN9rocsolver6v33100L6iota_nI19rocblas_complex_numIfEEEvPT_jS4_,"axG",@progbits,_ZN9rocsolver6v33100L6iota_nI19rocblas_complex_numIfEEEvPT_jS4_,comdat
	.globl	_ZN9rocsolver6v33100L6iota_nI19rocblas_complex_numIfEEEvPT_jS4_ ; -- Begin function _ZN9rocsolver6v33100L6iota_nI19rocblas_complex_numIfEEEvPT_jS4_
	.p2align	8
	.type	_ZN9rocsolver6v33100L6iota_nI19rocblas_complex_numIfEEEvPT_jS4_,@function
_ZN9rocsolver6v33100L6iota_nI19rocblas_complex_numIfEEEvPT_jS4_: ; @_ZN9rocsolver6v33100L6iota_nI19rocblas_complex_numIfEEEvPT_jS4_
; %bb.0:
	s_load_b32 s2, s[0:1], 0x8
	s_wait_kmcnt 0x0
	v_cmp_gt_u32_e32 vcc_lo, s2, v0
	s_and_saveexec_b32 s2, vcc_lo
	s_cbranch_execz .LBB6_2
; %bb.1:
	s_clause 0x1
	s_load_b64 s[2:3], s[0:1], 0xc
	s_load_b64 s[4:5], s[0:1], 0x0
	v_cvt_f32_ubyte0_e32 v2, v0
	v_mov_b32_e32 v3, 0
	s_wait_kmcnt 0x0
	v_mov_b64_e32 v[4:5], s[2:3]
	s_delay_alu instid0(VALU_DEP_1)
	v_pk_add_f32 v[2:3], v[4:5], v[2:3]
	global_store_b64 v0, v[2:3], s[4:5] scale_offset
.LBB6_2:
	s_endpgm
	.section	.rodata,"a",@progbits
	.p2align	6, 0x0
	.amdhsa_kernel _ZN9rocsolver6v33100L6iota_nI19rocblas_complex_numIfEEEvPT_jS4_
		.amdhsa_group_segment_fixed_size 0
		.amdhsa_private_segment_fixed_size 0
		.amdhsa_kernarg_size 20
		.amdhsa_user_sgpr_count 2
		.amdhsa_user_sgpr_dispatch_ptr 0
		.amdhsa_user_sgpr_queue_ptr 0
		.amdhsa_user_sgpr_kernarg_segment_ptr 1
		.amdhsa_user_sgpr_dispatch_id 0
		.amdhsa_user_sgpr_kernarg_preload_length 0
		.amdhsa_user_sgpr_kernarg_preload_offset 0
		.amdhsa_user_sgpr_private_segment_size 0
		.amdhsa_wavefront_size32 1
		.amdhsa_uses_dynamic_stack 0
		.amdhsa_enable_private_segment 0
		.amdhsa_system_sgpr_workgroup_id_x 1
		.amdhsa_system_sgpr_workgroup_id_y 0
		.amdhsa_system_sgpr_workgroup_id_z 0
		.amdhsa_system_sgpr_workgroup_info 0
		.amdhsa_system_vgpr_workitem_id 0
		.amdhsa_next_free_vgpr 6
		.amdhsa_next_free_sgpr 6
		.amdhsa_named_barrier_count 0
		.amdhsa_reserve_vcc 1
		.amdhsa_float_round_mode_32 0
		.amdhsa_float_round_mode_16_64 0
		.amdhsa_float_denorm_mode_32 3
		.amdhsa_float_denorm_mode_16_64 3
		.amdhsa_fp16_overflow 0
		.amdhsa_memory_ordered 1
		.amdhsa_forward_progress 1
		.amdhsa_inst_pref_size 1
		.amdhsa_round_robin_scheduling 0
		.amdhsa_exception_fp_ieee_invalid_op 0
		.amdhsa_exception_fp_denorm_src 0
		.amdhsa_exception_fp_ieee_div_zero 0
		.amdhsa_exception_fp_ieee_overflow 0
		.amdhsa_exception_fp_ieee_underflow 0
		.amdhsa_exception_fp_ieee_inexact 0
		.amdhsa_exception_int_div_zero 0
	.end_amdhsa_kernel
	.section	.text._ZN9rocsolver6v33100L6iota_nI19rocblas_complex_numIfEEEvPT_jS4_,"axG",@progbits,_ZN9rocsolver6v33100L6iota_nI19rocblas_complex_numIfEEEvPT_jS4_,comdat
.Lfunc_end6:
	.size	_ZN9rocsolver6v33100L6iota_nI19rocblas_complex_numIfEEEvPT_jS4_, .Lfunc_end6-_ZN9rocsolver6v33100L6iota_nI19rocblas_complex_numIfEEEvPT_jS4_
                                        ; -- End function
	.set _ZN9rocsolver6v33100L6iota_nI19rocblas_complex_numIfEEEvPT_jS4_.num_vgpr, 6
	.set _ZN9rocsolver6v33100L6iota_nI19rocblas_complex_numIfEEEvPT_jS4_.num_agpr, 0
	.set _ZN9rocsolver6v33100L6iota_nI19rocblas_complex_numIfEEEvPT_jS4_.numbered_sgpr, 6
	.set _ZN9rocsolver6v33100L6iota_nI19rocblas_complex_numIfEEEvPT_jS4_.num_named_barrier, 0
	.set _ZN9rocsolver6v33100L6iota_nI19rocblas_complex_numIfEEEvPT_jS4_.private_seg_size, 0
	.set _ZN9rocsolver6v33100L6iota_nI19rocblas_complex_numIfEEEvPT_jS4_.uses_vcc, 1
	.set _ZN9rocsolver6v33100L6iota_nI19rocblas_complex_numIfEEEvPT_jS4_.uses_flat_scratch, 0
	.set _ZN9rocsolver6v33100L6iota_nI19rocblas_complex_numIfEEEvPT_jS4_.has_dyn_sized_stack, 0
	.set _ZN9rocsolver6v33100L6iota_nI19rocblas_complex_numIfEEEvPT_jS4_.has_recursion, 0
	.set _ZN9rocsolver6v33100L6iota_nI19rocblas_complex_numIfEEEvPT_jS4_.has_indirect_call, 0
	.section	.AMDGPU.csdata,"",@progbits
; Kernel info:
; codeLenInByte = 88
; TotalNumSgprs: 8
; NumVgprs: 6
; ScratchSize: 0
; MemoryBound: 0
; FloatMode: 240
; IeeeMode: 1
; LDSByteSize: 0 bytes/workgroup (compile time only)
; SGPRBlocks: 0
; VGPRBlocks: 0
; NumSGPRsForWavesPerEU: 8
; NumVGPRsForWavesPerEU: 6
; NamedBarCnt: 0
; Occupancy: 16
; WaveLimiterHint : 0
; COMPUTE_PGM_RSRC2:SCRATCH_EN: 0
; COMPUTE_PGM_RSRC2:USER_SGPR: 2
; COMPUTE_PGM_RSRC2:TRAP_HANDLER: 0
; COMPUTE_PGM_RSRC2:TGID_X_EN: 1
; COMPUTE_PGM_RSRC2:TGID_Y_EN: 0
; COMPUTE_PGM_RSRC2:TGID_Z_EN: 0
; COMPUTE_PGM_RSRC2:TIDIG_COMP_CNT: 0
	.section	.text._ZN9rocsolver6v33100L16larf_left_kernelILi1024E19rocblas_complex_numIfEiPS3_EEvT1_S5_T2_lS5_lPKT0_lS6_lS5_l,"axG",@progbits,_ZN9rocsolver6v33100L16larf_left_kernelILi1024E19rocblas_complex_numIfEiPS3_EEvT1_S5_T2_lS5_lPKT0_lS6_lS5_l,comdat
	.globl	_ZN9rocsolver6v33100L16larf_left_kernelILi1024E19rocblas_complex_numIfEiPS3_EEvT1_S5_T2_lS5_lPKT0_lS6_lS5_l ; -- Begin function _ZN9rocsolver6v33100L16larf_left_kernelILi1024E19rocblas_complex_numIfEiPS3_EEvT1_S5_T2_lS5_lPKT0_lS6_lS5_l
	.p2align	8
	.type	_ZN9rocsolver6v33100L16larf_left_kernelILi1024E19rocblas_complex_numIfEiPS3_EEvT1_S5_T2_lS5_lPKT0_lS6_lS5_l,@function
_ZN9rocsolver6v33100L16larf_left_kernelILi1024E19rocblas_complex_numIfEiPS3_EEvT1_S5_T2_lS5_lPKT0_lS6_lS5_l: ; @_ZN9rocsolver6v33100L16larf_left_kernelILi1024E19rocblas_complex_numIfEiPS3_EEvT1_S5_T2_lS5_lPKT0_lS6_lS5_l
; %bb.0:
	s_clause 0x3
	s_load_b96 s[12:14], s[0:1], 0x40
	s_load_b64 s[2:3], s[0:1], 0x50
	s_load_b32 s18, s[0:1], 0x0
	s_load_b256 s[4:11], s[0:1], 0x20
	s_bfe_u32 s15, ttmp6, 0x40010
	s_bfe_u32 s21, ttmp6, 0x40014
	s_and_b32 s19, ttmp7, 0xffff
	s_lshr_b32 s20, ttmp7, 16
	s_add_co_i32 s15, s15, 1
	s_add_co_i32 s21, s21, 1
	v_mov_b32_e32 v3, 0
	s_bfe_u32 s16, ttmp6, 0x40004
	s_bfe_u32 s22, ttmp6, 0x40008
	s_mul_i32 s15, s19, s15
	s_mul_i32 s21, s20, s21
	s_getreg_b32 s23, hwreg(HW_REG_IB_STS2, 6, 4)
	s_add_co_i32 s24, s16, s15
	s_add_co_i32 s22, s22, s21
	s_mov_b32 s17, 0
	v_mov_b32_e32 v2, v3
	s_wait_kmcnt 0x0
	s_ashr_i32 s15, s14, 31
	s_cmp_eq_u32 s23, 0
	v_cmp_gt_i32_e32 vcc_lo, s18, v0
	s_cselect_b32 s16, s20, s22
	s_cselect_b32 s20, s19, s24
	s_mov_b32 s21, s17
	s_mul_u64 s[2:3], s[2:3], s[16:17]
	s_mul_u64 s[14:15], s[14:15], s[20:21]
	s_and_saveexec_b32 s19, vcc_lo
	s_cbranch_execz .LBB7_6
; %bb.1:
	s_clause 0x1
	s_load_b32 s24, s[0:1], 0x18
	s_load_b128 s[20:23], s[0:1], 0x8
	v_dual_mov_b32 v1, 0 :: v_dual_mov_b32 v5, v0
	s_wait_xcnt 0x0
	s_sub_co_i32 s1, 1, s18
	s_mul_u64 s[4:5], s[4:5], s[16:17]
	s_wait_kmcnt 0x0
	s_ashr_i32 s25, s24, 31
	s_mul_i32 s1, s24, s1
	v_mul_u64_e32 v[2:3], s[24:25], v[0:1]
	v_cmp_lt_i64_e64 s0, s[24:25], 1
	v_lshlrev_b32_e32 v1, 3, v0
	s_delay_alu instid0(VALU_DEP_1)
	v_add3_u32 v1, v1, 0, 0x100
	s_and_b32 s0, s0, exec_lo
	s_cselect_b32 s0, s1, 0
	s_lshl_b64 s[22:23], s[22:23], 3
	s_ashr_i32 s1, s0, 31
	s_lshl_b64 s[4:5], s[4:5], 3
	s_lshl_b64 s[0:1], s[0:1], 3
	v_mov_b32_e32 v4, v1
	s_add_nc_u64 s[0:1], s[20:21], s[0:1]
	s_delay_alu instid0(SALU_CYCLE_1) | instskip(NEXT) | instid1(SALU_CYCLE_1)
	s_add_nc_u64 s[0:1], s[0:1], s[22:23]
	s_add_nc_u64 s[0:1], s[0:1], s[4:5]
	s_lshl_b64 s[4:5], s[24:25], 13
	v_lshl_add_u64 v[2:3], v[2:3], 3, s[0:1]
	s_mov_b32 s1, s17
.LBB7_2:                                ; =>This Inner Loop Header: Depth=1
	global_load_b64 v[6:7], v[2:3], off
	v_add_nc_u32_e32 v5, 0x400, v5
	s_wait_xcnt 0x0
	v_add_nc_u64_e32 v[2:3], s[4:5], v[2:3]
	s_delay_alu instid0(VALU_DEP_2)
	v_cmp_le_i32_e64 s0, s18, v5
	s_or_b32 s1, s0, s1
	s_wait_loadcnt 0x0
	ds_store_b64 v4, v[6:7]
	v_add_nc_u32_e32 v4, 0x2000, v4
	s_and_not1_b32 exec_lo, exec_lo, s1
	s_cbranch_execnz .LBB7_2
; %bb.3:
	s_or_b32 exec_lo, exec_lo, s1
	s_lshl_b64 s[0:1], s[2:3], 3
	s_lshl_b64 s[4:5], s[14:15], 3
	v_dual_mov_b32 v3, 0 :: v_dual_lshlrev_b32 v2, 3, v0
	s_add_nc_u64 s[0:1], s[0:1], s[4:5]
	s_lshl_b64 s[4:5], s[12:13], 3
	v_mov_b32_e32 v6, v0
	s_add_nc_u64 s[0:1], s[0:1], s[4:5]
	s_delay_alu instid0(SALU_CYCLE_1) | instskip(NEXT) | instid1(SALU_CYCLE_1)
	s_add_nc_u64 s[0:1], s[10:11], s[0:1]
	v_add_nc_u64_e32 v[4:5], s[0:1], v[2:3]
	v_mov_b32_e32 v2, v3
	s_mov_b32 s1, 0
	s_delay_alu instid0(VALU_DEP_2)
	v_add_nc_u64_e32 v[4:5], 4, v[4:5]
.LBB7_4:                                ; =>This Inner Loop Header: Depth=1
	global_load_b64 v[8:9], v[4:5], off offset:-4
	ds_load_b64 v[10:11], v1
	s_wait_xcnt 0x0
	v_add_nc_u64_e32 v[4:5], 0x2000, v[4:5]
	v_add_nc_u32_e32 v1, 0x2000, v1
	s_wait_loadcnt_dscnt 0x0
	v_pk_mul_f32 v[12:13], v[8:9], v[10:11] op_sel:[1,1] op_sel_hi:[1,0]
	s_delay_alu instid0(VALU_DEP_1) | instskip(SKIP_2) | instid1(VALU_DEP_3)
	v_pk_fma_f32 v[14:15], v[8:9], v[10:11], v[12:13] op_sel_hi:[0,1,1] neg_lo:[0,0,1] neg_hi:[0,0,1]
	v_add_nc_u32_e32 v6, 0x400, v6
	v_pk_fma_f32 v[8:9], v[8:9], v[10:11], v[12:13]
	v_mov_b32_e32 v9, v15
	s_delay_alu instid0(VALU_DEP_3) | instskip(NEXT) | instid1(VALU_DEP_2)
	v_cmp_le_i32_e64 s0, s18, v6
	v_pk_add_f32 v[2:3], v[2:3], v[8:9]
	s_or_b32 s1, s0, s1
	s_delay_alu instid0(SALU_CYCLE_1)
	s_and_not1_b32 exec_lo, exec_lo, s1
	s_cbranch_execnz .LBB7_4
; %bb.5:
	s_or_b32 exec_lo, exec_lo, s1
.LBB7_6:
	s_delay_alu instid0(SALU_CYCLE_1) | instskip(SKIP_2) | instid1(VALU_DEP_1)
	s_or_b32 exec_lo, exec_lo, s19
	v_mbcnt_lo_u32_b32 v1, -1, 0
	s_mov_b32 s1, exec_lo
	v_cmp_ne_u32_e64 s0, 31, v1
	s_delay_alu instid0(VALU_DEP_1) | instskip(SKIP_1) | instid1(VALU_DEP_2)
	v_add_co_ci_u32_e64 v4, null, 0, v1, s0
	v_cmp_gt_u32_e64 s0, 30, v1
	v_lshlrev_b32_e32 v5, 2, v4
	s_delay_alu instid0(VALU_DEP_2)
	v_cndmask_b32_e64 v6, 0, 2, s0
	v_cmp_gt_u32_e64 s0, 28, v1
	ds_bpermute_b32 v4, v5, v2
	ds_bpermute_b32 v5, v5, v3
	v_add_lshl_u32 v6, v6, v1, 2
	s_wait_dscnt 0x0
	v_pk_add_f32 v[2:3], v[2:3], v[4:5]
	ds_bpermute_b32 v4, v6, v2
	ds_bpermute_b32 v5, v6, v3
	v_cndmask_b32_e64 v6, 0, 4, s0
	v_cmp_gt_u32_e64 s0, 24, v1
	s_delay_alu instid0(VALU_DEP_2)
	v_add_lshl_u32 v6, v6, v1, 2
	s_wait_dscnt 0x0
	v_pk_add_f32 v[2:3], v[2:3], v[4:5]
	ds_bpermute_b32 v4, v6, v2
	ds_bpermute_b32 v5, v6, v3
	v_cndmask_b32_e64 v6, 0, 8, s0
	s_delay_alu instid0(VALU_DEP_1)
	v_add_lshl_u32 v6, v6, v1, 2
	v_lshl_or_b32 v1, v1, 2, 64
	s_wait_dscnt 0x0
	v_pk_add_f32 v[2:3], v[2:3], v[4:5]
	ds_bpermute_b32 v4, v6, v2
	ds_bpermute_b32 v5, v6, v3
	s_wait_dscnt 0x0
	v_pk_add_f32 v[2:3], v[2:3], v[4:5]
	ds_bpermute_b32 v4, v1, v2
	ds_bpermute_b32 v5, v1, v3
	v_and_b32_e32 v1, 31, v0
	s_wait_dscnt 0x0
	v_pk_add_f32 v[2:3], v[2:3], v[4:5]
	s_delay_alu instid0(VALU_DEP_2)
	v_cmpx_eq_u32_e32 0, v1
; %bb.7:
	v_lshrrev_b32_e32 v1, 2, v0
	s_delay_alu instid0(VALU_DEP_1)
	v_add_nc_u32_e32 v1, 0, v1
	ds_store_2addr_b32 v1, v2, v3 offset1:1
; %bb.8:
	s_or_b32 exec_lo, exec_lo, s1
	s_delay_alu instid0(SALU_CYCLE_1)
	s_mov_b32 s1, exec_lo
	s_wait_dscnt 0x0
	s_barrier_signal -1
	s_barrier_wait -1
	v_cmpx_eq_u32_e32 0, v0
	s_cbranch_execz .LBB7_10
; %bb.9:
	v_mov_b32_e32 v1, 0
	ds_load_2addr_b64 v[4:7], v1 offset0:1 offset1:2
	ds_load_2addr_b64 v[8:11], v1 offset0:3 offset1:4
	;; [unrolled: 1-line block ×3, first 2 shown]
	s_wait_dscnt 0x2
	v_pk_add_f32 v[2:3], v[2:3], v[4:5]
	s_delay_alu instid0(VALU_DEP_1) | instskip(SKIP_3) | instid1(VALU_DEP_1)
	v_pk_add_f32 v[6:7], v[2:3], v[6:7]
	ds_load_2addr_b64 v[2:5], v1 offset0:7 offset1:8
	s_wait_dscnt 0x2
	v_pk_add_f32 v[6:7], v[6:7], v[8:9]
	v_pk_add_f32 v[10:11], v[6:7], v[10:11]
	ds_load_2addr_b64 v[6:9], v1 offset0:9 offset1:10
	s_wait_dscnt 0x2
	v_pk_add_f32 v[10:11], v[10:11], v[12:13]
	s_delay_alu instid0(VALU_DEP_1) | instskip(SKIP_3) | instid1(VALU_DEP_1)
	v_pk_add_f32 v[14:15], v[10:11], v[14:15]
	ds_load_2addr_b64 v[10:13], v1 offset0:11 offset1:12
	s_wait_dscnt 0x2
	v_pk_add_f32 v[2:3], v[14:15], v[2:3]
	v_pk_add_f32 v[14:15], v[2:3], v[4:5]
	ds_load_2addr_b64 v[2:5], v1 offset0:13 offset1:14
	;; [unrolled: 9-line block ×5, first 2 shown]
	s_wait_dscnt 0x2
	v_pk_add_f32 v[6:7], v[14:15], v[6:7]
	s_delay_alu instid0(VALU_DEP_1) | instskip(SKIP_3) | instid1(VALU_DEP_1)
	v_pk_add_f32 v[14:15], v[6:7], v[8:9]
	ds_load_2addr_b64 v[6:9], v1 offset0:27 offset1:28
	s_wait_dscnt 0x2
	v_pk_add_f32 v[10:11], v[14:15], v[10:11]
	v_pk_add_f32 v[10:11], v[10:11], v[12:13]
	s_wait_dscnt 0x1
	s_delay_alu instid0(VALU_DEP_1)
	v_pk_add_f32 v[2:3], v[10:11], v[2:3]
	ds_load_2addr_b64 v[10:13], v1 offset0:29 offset1:30
	v_pk_add_f32 v[2:3], v[2:3], v[4:5]
	ds_load_b64 v[4:5], v1 offset:248
	s_wait_dscnt 0x2
	v_pk_add_f32 v[2:3], v[2:3], v[6:7]
	s_delay_alu instid0(VALU_DEP_1) | instskip(SKIP_1) | instid1(VALU_DEP_1)
	v_pk_add_f32 v[2:3], v[2:3], v[8:9]
	s_wait_dscnt 0x1
	v_pk_add_f32 v[2:3], v[2:3], v[10:11]
	s_delay_alu instid0(VALU_DEP_1) | instskip(SKIP_1) | instid1(VALU_DEP_1)
	v_pk_add_f32 v[2:3], v[2:3], v[12:13]
	s_wait_dscnt 0x0
	v_pk_add_f32 v[2:3], v[2:3], v[4:5]
	ds_store_b64 v1, v[2:3]
.LBB7_10:
	s_or_b32 exec_lo, exec_lo, s1
	s_wait_dscnt 0x0
	s_barrier_signal -1
	s_barrier_wait -1
	s_and_saveexec_b32 s0, vcc_lo
	s_cbranch_execz .LBB7_20
; %bb.11:
	s_mul_u64 s[0:1], s[8:9], s[16:17]
	s_delay_alu instid0(SALU_CYCLE_1) | instskip(NEXT) | instid1(SALU_CYCLE_1)
	s_lshl_b64 s[0:1], s[0:1], 3
	s_add_nc_u64 s[0:1], s[6:7], s[0:1]
	s_load_b64 s[4:5], s[0:1], 0x0
	v_mov_b32_e32 v7, 0
	s_wait_xcnt 0x0
	s_mov_b32 s1, exec_lo
	ds_load_b64 v[8:9], v7
	s_wait_kmcnt 0x0
	s_xor_b32 s0, s4, 0x80000000
	s_wait_dscnt 0x0
	v_mul_f32_e32 v1, s5, v9
	s_delay_alu instid0(VALU_DEP_1) | instskip(SKIP_2) | instid1(VALU_DEP_3)
	v_xor_b32_e32 v2, 0x80000000, v1
	v_mul_f32_e32 v3, s5, v8
	v_xad_u32 v1, v0, -1, s18
	v_fmac_f32_e32 v2, s0, v8
	s_delay_alu instid0(VALU_DEP_3) | instskip(SKIP_1) | instid1(VALU_DEP_1)
	v_xor_b32_e32 v4, 0x80000000, v3
	s_mov_b32 s0, 0
	v_fmac_f32_e32 v4, s4, v9
	v_cmpx_lt_u32_e32 0x3ff, v1
	s_xor_b32 s4, exec_lo, s1
	s_cbranch_execnz .LBB7_14
; %bb.12:
	s_and_not1_saveexec_b32 s1, s4
	s_cbranch_execnz .LBB7_17
.LBB7_13:
	s_or_b32 exec_lo, exec_lo, s1
	s_delay_alu instid0(SALU_CYCLE_1)
	s_and_b32 exec_lo, exec_lo, s0
	s_cbranch_execnz .LBB7_18
	s_branch .LBB7_20
.LBB7_14:
	v_dual_lshrrev_b32 v1, 10, v1 :: v_dual_mov_b32 v3, v2
	s_lshl_b64 s[0:1], s[2:3], 3
	s_lshl_b64 s[6:7], s[12:13], 3
	s_add_nc_u64 s[0:1], s[10:11], s[0:1]
	s_delay_alu instid0(VALU_DEP_1) | instskip(SKIP_3) | instid1(VALU_DEP_2)
	v_dual_add_nc_u32 v10, 1, v1 :: v_dual_lshlrev_b32 v6, 3, v0
	v_or_b32_e32 v1, 0x400, v0
	s_lshl_b64 s[8:9], s[14:15], 3
	s_add_nc_u64 s[0:1], s[0:1], s[6:7]
	v_and_b32_e32 v11, 0x7ffffe, v10
	v_mov_b32_e32 v5, v4
	v_mov_b64_e32 v[8:9], v[0:1]
	v_add3_u32 v12, v6, 0, 0x100
	s_add_nc_u64 s[0:1], s[0:1], s[8:9]
	v_mov_b32_e32 v13, v11
	s_mov_b32 s5, 0
.LBB7_15:                               ; =>This Inner Loop Header: Depth=1
	s_delay_alu instid0(VALU_DEP_3) | instskip(NEXT) | instid1(VALU_DEP_1)
	v_mov_b32_e32 v6, v8
	v_lshl_add_u64 v[18:19], v[6:7], 3, s[0:1]
	v_dual_mov_b32 v6, v9 :: v_dual_add_nc_u32 v9, 0x800, v9
	s_delay_alu instid0(VALU_DEP_1)
	v_lshl_add_u64 v[20:21], v[6:7], 3, s[0:1]
	s_clause 0x1
	global_load_b64 v[22:23], v[18:19], off
	global_load_b64 v[24:25], v[20:21], off
	ds_load_2addr_stride64_b64 v[14:17], v12 offset1:16
	s_wait_dscnt 0x0
	v_dual_mov_b32 v27, v16 :: v_dual_add_nc_u32 v12, 0x4000, v12
	v_dual_mov_b32 v16, v15 :: v_dual_mov_b32 v26, v14
	s_delay_alu instid0(VALU_DEP_1) | instskip(SKIP_1) | instid1(VALU_DEP_2)
	v_pk_mul_f32 v[14:15], v[4:5], v[16:17]
	v_pk_mul_f32 v[16:17], v[2:3], v[16:17]
	v_pk_fma_f32 v[14:15], v[2:3], v[26:27], v[14:15] neg_lo:[0,0,1] neg_hi:[0,0,1]
	s_delay_alu instid0(VALU_DEP_2) | instskip(SKIP_3) | instid1(VALU_DEP_2)
	v_pk_fma_f32 v[16:17], v[4:5], v[26:27], v[16:17]
	s_wait_loadcnt 0x0
	v_dual_mov_b32 v26, v22 :: v_dual_mov_b32 v27, v24
	v_mov_b32_e32 v24, v23
	v_pk_add_f32 v[14:15], v[26:27], v[14:15]
	v_add_nc_u32_e32 v13, -2, v13
	s_delay_alu instid0(VALU_DEP_3) | instskip(SKIP_1) | instid1(VALU_DEP_4)
	v_pk_add_f32 v[16:17], v[16:17], v[24:25]
	v_add_nc_u32_e32 v8, 0x800, v8
	v_mov_b32_e32 v22, v14
	s_delay_alu instid0(VALU_DEP_4) | instskip(NEXT) | instid1(VALU_DEP_4)
	v_cmp_eq_u32_e32 vcc_lo, 0, v13
	v_dual_mov_b32 v23, v16 :: v_dual_mov_b32 v16, v15
	s_clause 0x1
	global_store_b64 v[18:19], v[22:23], off
	global_store_b64 v[20:21], v[16:17], off
	s_or_b32 s5, vcc_lo, s5
	s_wait_xcnt 0x0
	s_and_not1_b32 exec_lo, exec_lo, s5
	s_cbranch_execnz .LBB7_15
; %bb.16:
	s_or_b32 exec_lo, exec_lo, s5
	v_cmp_ne_u32_e32 vcc_lo, v10, v11
	v_lshl_or_b32 v0, v11, 10, v0
	s_and_b32 s0, vcc_lo, exec_lo
	s_and_not1_saveexec_b32 s1, s4
	s_cbranch_execz .LBB7_13
.LBB7_17:
	s_or_b32 s0, s0, exec_lo
	s_or_b32 exec_lo, exec_lo, s1
	s_delay_alu instid0(SALU_CYCLE_1)
	s_and_b32 exec_lo, exec_lo, s0
	s_cbranch_execz .LBB7_20
.LBB7_18:
	s_lshl_b64 s[0:1], s[2:3], 3
	s_lshl_b64 s[2:3], s[14:15], 3
	v_dual_mov_b32 v5, v4 :: v_dual_lshlrev_b32 v6, 3, v0
	s_add_nc_u64 s[0:1], s[0:1], s[2:3]
	s_lshl_b64 s[2:3], s[12:13], 3
	v_dual_mov_b32 v1, 0 :: v_dual_mov_b32 v3, v2
	s_add_nc_u64 s[0:1], s[0:1], s[2:3]
	v_add3_u32 v8, v6, 0, 0x100
	s_add_nc_u64 s[0:1], s[10:11], s[0:1]
	s_delay_alu instid0(VALU_DEP_2) | instid1(SALU_CYCLE_1)
	v_lshl_add_u64 v[6:7], v[0:1], 3, s[0:1]
	s_mov_b32 s0, 0
.LBB7_19:                               ; =>This Inner Loop Header: Depth=1
	global_load_b64 v[10:11], v[6:7], off
	ds_load_b64 v[12:13], v8
	v_add_nc_u32_e32 v8, 0x2000, v8
	v_add_nc_u32_e32 v0, 0x400, v0
	s_delay_alu instid0(VALU_DEP_1) | instskip(SKIP_3) | instid1(VALU_DEP_1)
	v_cmp_le_i32_e32 vcc_lo, s18, v0
	s_or_b32 s0, vcc_lo, s0
	s_wait_dscnt 0x0
	v_pk_mul_f32 v[14:15], v[4:5], v[12:13] op_sel:[0,1] op_sel_hi:[1,0]
	v_pk_fma_f32 v[16:17], v[2:3], v[12:13], v[14:15]
	v_pk_fma_f32 v[12:13], v[2:3], v[12:13], v[14:15] neg_lo:[0,0,1] neg_hi:[0,0,1]
	s_delay_alu instid0(VALU_DEP_2) | instskip(SKIP_1) | instid1(VALU_DEP_1)
	v_mov_b32_e32 v13, v17
	s_wait_loadcnt 0x0
	v_pk_add_f32 v[10:11], v[10:11], v[12:13]
	global_store_b64 v[6:7], v[10:11], off
	s_wait_xcnt 0x0
	v_add_nc_u64_e32 v[6:7], 0x2000, v[6:7]
	s_and_not1_b32 exec_lo, exec_lo, s0
	s_cbranch_execnz .LBB7_19
.LBB7_20:
	s_endpgm
	.section	.rodata,"a",@progbits
	.p2align	6, 0x0
	.amdhsa_kernel _ZN9rocsolver6v33100L16larf_left_kernelILi1024E19rocblas_complex_numIfEiPS3_EEvT1_S5_T2_lS5_lPKT0_lS6_lS5_l
		.amdhsa_group_segment_fixed_size 0
		.amdhsa_private_segment_fixed_size 0
		.amdhsa_kernarg_size 88
		.amdhsa_user_sgpr_count 2
		.amdhsa_user_sgpr_dispatch_ptr 0
		.amdhsa_user_sgpr_queue_ptr 0
		.amdhsa_user_sgpr_kernarg_segment_ptr 1
		.amdhsa_user_sgpr_dispatch_id 0
		.amdhsa_user_sgpr_kernarg_preload_length 0
		.amdhsa_user_sgpr_kernarg_preload_offset 0
		.amdhsa_user_sgpr_private_segment_size 0
		.amdhsa_wavefront_size32 1
		.amdhsa_uses_dynamic_stack 0
		.amdhsa_enable_private_segment 0
		.amdhsa_system_sgpr_workgroup_id_x 1
		.amdhsa_system_sgpr_workgroup_id_y 1
		.amdhsa_system_sgpr_workgroup_id_z 1
		.amdhsa_system_sgpr_workgroup_info 0
		.amdhsa_system_vgpr_workitem_id 0
		.amdhsa_next_free_vgpr 28
		.amdhsa_next_free_sgpr 26
		.amdhsa_named_barrier_count 0
		.amdhsa_reserve_vcc 1
		.amdhsa_float_round_mode_32 0
		.amdhsa_float_round_mode_16_64 0
		.amdhsa_float_denorm_mode_32 3
		.amdhsa_float_denorm_mode_16_64 3
		.amdhsa_fp16_overflow 0
		.amdhsa_memory_ordered 1
		.amdhsa_forward_progress 1
		.amdhsa_inst_pref_size 18
		.amdhsa_round_robin_scheduling 0
		.amdhsa_exception_fp_ieee_invalid_op 0
		.amdhsa_exception_fp_denorm_src 0
		.amdhsa_exception_fp_ieee_div_zero 0
		.amdhsa_exception_fp_ieee_overflow 0
		.amdhsa_exception_fp_ieee_underflow 0
		.amdhsa_exception_fp_ieee_inexact 0
		.amdhsa_exception_int_div_zero 0
	.end_amdhsa_kernel
	.section	.text._ZN9rocsolver6v33100L16larf_left_kernelILi1024E19rocblas_complex_numIfEiPS3_EEvT1_S5_T2_lS5_lPKT0_lS6_lS5_l,"axG",@progbits,_ZN9rocsolver6v33100L16larf_left_kernelILi1024E19rocblas_complex_numIfEiPS3_EEvT1_S5_T2_lS5_lPKT0_lS6_lS5_l,comdat
.Lfunc_end7:
	.size	_ZN9rocsolver6v33100L16larf_left_kernelILi1024E19rocblas_complex_numIfEiPS3_EEvT1_S5_T2_lS5_lPKT0_lS6_lS5_l, .Lfunc_end7-_ZN9rocsolver6v33100L16larf_left_kernelILi1024E19rocblas_complex_numIfEiPS3_EEvT1_S5_T2_lS5_lPKT0_lS6_lS5_l
                                        ; -- End function
	.set _ZN9rocsolver6v33100L16larf_left_kernelILi1024E19rocblas_complex_numIfEiPS3_EEvT1_S5_T2_lS5_lPKT0_lS6_lS5_l.num_vgpr, 28
	.set _ZN9rocsolver6v33100L16larf_left_kernelILi1024E19rocblas_complex_numIfEiPS3_EEvT1_S5_T2_lS5_lPKT0_lS6_lS5_l.num_agpr, 0
	.set _ZN9rocsolver6v33100L16larf_left_kernelILi1024E19rocblas_complex_numIfEiPS3_EEvT1_S5_T2_lS5_lPKT0_lS6_lS5_l.numbered_sgpr, 26
	.set _ZN9rocsolver6v33100L16larf_left_kernelILi1024E19rocblas_complex_numIfEiPS3_EEvT1_S5_T2_lS5_lPKT0_lS6_lS5_l.num_named_barrier, 0
	.set _ZN9rocsolver6v33100L16larf_left_kernelILi1024E19rocblas_complex_numIfEiPS3_EEvT1_S5_T2_lS5_lPKT0_lS6_lS5_l.private_seg_size, 0
	.set _ZN9rocsolver6v33100L16larf_left_kernelILi1024E19rocblas_complex_numIfEiPS3_EEvT1_S5_T2_lS5_lPKT0_lS6_lS5_l.uses_vcc, 1
	.set _ZN9rocsolver6v33100L16larf_left_kernelILi1024E19rocblas_complex_numIfEiPS3_EEvT1_S5_T2_lS5_lPKT0_lS6_lS5_l.uses_flat_scratch, 0
	.set _ZN9rocsolver6v33100L16larf_left_kernelILi1024E19rocblas_complex_numIfEiPS3_EEvT1_S5_T2_lS5_lPKT0_lS6_lS5_l.has_dyn_sized_stack, 0
	.set _ZN9rocsolver6v33100L16larf_left_kernelILi1024E19rocblas_complex_numIfEiPS3_EEvT1_S5_T2_lS5_lPKT0_lS6_lS5_l.has_recursion, 0
	.set _ZN9rocsolver6v33100L16larf_left_kernelILi1024E19rocblas_complex_numIfEiPS3_EEvT1_S5_T2_lS5_lPKT0_lS6_lS5_l.has_indirect_call, 0
	.section	.AMDGPU.csdata,"",@progbits
; Kernel info:
; codeLenInByte = 2184
; TotalNumSgprs: 28
; NumVgprs: 28
; ScratchSize: 0
; MemoryBound: 0
; FloatMode: 240
; IeeeMode: 1
; LDSByteSize: 0 bytes/workgroup (compile time only)
; SGPRBlocks: 0
; VGPRBlocks: 1
; NumSGPRsForWavesPerEU: 28
; NumVGPRsForWavesPerEU: 28
; NamedBarCnt: 0
; Occupancy: 16
; WaveLimiterHint : 0
; COMPUTE_PGM_RSRC2:SCRATCH_EN: 0
; COMPUTE_PGM_RSRC2:USER_SGPR: 2
; COMPUTE_PGM_RSRC2:TRAP_HANDLER: 0
; COMPUTE_PGM_RSRC2:TGID_X_EN: 1
; COMPUTE_PGM_RSRC2:TGID_Y_EN: 1
; COMPUTE_PGM_RSRC2:TGID_Z_EN: 1
; COMPUTE_PGM_RSRC2:TIDIG_COMP_CNT: 0
	.section	.text._ZN9rocsolver6v33100L17larf_right_kernelILi1024E19rocblas_complex_numIfEiPS3_EEvT1_S5_T2_lS5_lPKT0_lS6_lS5_l,"axG",@progbits,_ZN9rocsolver6v33100L17larf_right_kernelILi1024E19rocblas_complex_numIfEiPS3_EEvT1_S5_T2_lS5_lPKT0_lS6_lS5_l,comdat
	.globl	_ZN9rocsolver6v33100L17larf_right_kernelILi1024E19rocblas_complex_numIfEiPS3_EEvT1_S5_T2_lS5_lPKT0_lS6_lS5_l ; -- Begin function _ZN9rocsolver6v33100L17larf_right_kernelILi1024E19rocblas_complex_numIfEiPS3_EEvT1_S5_T2_lS5_lPKT0_lS6_lS5_l
	.p2align	8
	.type	_ZN9rocsolver6v33100L17larf_right_kernelILi1024E19rocblas_complex_numIfEiPS3_EEvT1_S5_T2_lS5_lPKT0_lS6_lS5_l,@function
_ZN9rocsolver6v33100L17larf_right_kernelILi1024E19rocblas_complex_numIfEiPS3_EEvT1_S5_T2_lS5_lPKT0_lS6_lS5_l: ; @_ZN9rocsolver6v33100L17larf_right_kernelILi1024E19rocblas_complex_numIfEiPS3_EEvT1_S5_T2_lS5_lPKT0_lS6_lS5_l
; %bb.0:
	s_clause 0x3
	s_load_b32 s15, s[0:1], 0x4
	s_load_b96 s[12:14], s[0:1], 0x40
	s_load_b64 s[16:17], s[0:1], 0x50
	s_load_b256 s[4:11], s[0:1], 0x20
	s_bfe_u32 s2, ttmp6, 0x40010
	s_bfe_u32 s21, ttmp6, 0x40014
	s_and_b32 s18, ttmp7, 0xffff
	s_lshr_b32 s20, ttmp7, 16
	s_add_co_i32 s2, s2, 1
	s_add_co_i32 s21, s21, 1
	v_dual_mov_b32 v3, 0 :: v_dual_lshlrev_b32 v6, 3, v0
	s_bfe_u32 s19, ttmp6, 0x40004
	s_bfe_u32 s22, ttmp6, 0x40008
	s_mul_i32 s2, s18, s2
	s_mul_i32 s21, s20, s21
	s_getreg_b32 s23, hwreg(HW_REG_IB_STS2, 6, 4)
	s_add_co_i32 s19, s19, s2
	s_add_co_i32 s22, s22, s21
	s_cmp_eq_u32 s23, 0
	v_mov_b32_e32 v2, v3
	s_wait_kmcnt 0x0
	v_cmp_gt_i32_e32 vcc_lo, s15, v0
	s_mov_b32 s3, 0
	s_cselect_b32 s2, s20, s22
	s_cselect_b32 s18, s18, s19
	s_mul_u64 s[16:17], s[16:17], s[2:3]
	s_and_saveexec_b32 s19, vcc_lo
	s_cbranch_execz .LBB8_6
; %bb.1:
	s_clause 0x1
	s_load_b32 s24, s[0:1], 0x18
	s_load_b128 s[20:23], s[0:1], 0x8
	v_add3_u32 v7, v6, 0, 0x100
	v_mov_b32_e32 v1, 0
	s_wait_xcnt 0x0
	s_sub_co_i32 s1, 1, s15
	s_mul_u64 s[4:5], s[4:5], s[2:3]
	v_dual_mov_b32 v5, v0 :: v_dual_mov_b32 v4, v7
	s_wait_kmcnt 0x0
	s_ashr_i32 s25, s24, 31
	s_mul_i32 s1, s24, s1
	v_mul_u64_e32 v[2:3], s[24:25], v[0:1]
	v_cmp_lt_i64_e64 s0, s[24:25], 1
	s_and_b32 s0, s0, exec_lo
	s_cselect_b32 s0, s1, 0
	s_lshl_b64 s[22:23], s[22:23], 3
	s_ashr_i32 s1, s0, 31
	s_lshl_b64 s[4:5], s[4:5], 3
	s_lshl_b64 s[0:1], s[0:1], 3
	s_delay_alu instid0(SALU_CYCLE_1) | instskip(NEXT) | instid1(SALU_CYCLE_1)
	s_add_nc_u64 s[0:1], s[20:21], s[0:1]
	s_add_nc_u64 s[0:1], s[0:1], s[22:23]
	s_delay_alu instid0(SALU_CYCLE_1)
	s_add_nc_u64 s[0:1], s[0:1], s[4:5]
	s_lshl_b64 s[4:5], s[24:25], 13
	v_lshl_add_u64 v[2:3], v[2:3], 3, s[0:1]
	s_mov_b32 s1, s3
.LBB8_2:                                ; =>This Inner Loop Header: Depth=1
	global_load_b64 v[8:9], v[2:3], off
	v_add_nc_u32_e32 v5, 0x400, v5
	s_wait_xcnt 0x0
	v_add_nc_u64_e32 v[2:3], s[4:5], v[2:3]
	s_delay_alu instid0(VALU_DEP_2)
	v_cmp_le_i32_e64 s0, s15, v5
	s_or_b32 s1, s0, s1
	s_wait_loadcnt 0x0
	ds_store_b64 v4, v[8:9]
	v_add_nc_u32_e32 v4, 0x2000, v4
	s_and_not1_b32 exec_lo, exec_lo, s1
	s_cbranch_execnz .LBB8_2
; %bb.3:
	s_or_b32 exec_lo, exec_lo, s1
	s_ashr_i32 s5, s14, 31
	s_mov_b32 s4, s14
	s_lshl_b32 s0, s18, 3
	v_mul_u64_e32 v[4:5], s[4:5], v[0:1]
	s_mov_b32 s1, 0
	s_lshl_b64 s[22:23], s[12:13], 3
	s_add_nc_u64 s[24:25], s[10:11], s[0:1]
	v_dual_mov_b32 v2, 0 :: v_dual_mov_b32 v1, v0
	s_lshl_b64 s[20:21], s[16:17], 3
	s_add_nc_u64 s[22:23], s[24:25], s[22:23]
	s_lshl_b64 s[4:5], s[4:5], 13
	s_add_nc_u64 s[20:21], s[22:23], s[20:21]
	v_mov_b32_e32 v3, v2
	s_delay_alu instid0(VALU_DEP_3)
	v_lshl_add_u64 v[4:5], v[4:5], 3, s[20:21]
.LBB8_4:                                ; =>This Inner Loop Header: Depth=1
	global_load_b64 v[8:9], v[4:5], off
	ds_load_b64 v[10:11], v7
	v_add_nc_u32_e32 v1, 0x400, v1
	s_wait_xcnt 0x0
	v_add_nc_u64_e32 v[4:5], s[4:5], v[4:5]
	v_add_nc_u32_e32 v7, 0x2000, v7
	s_delay_alu instid0(VALU_DEP_3) | instskip(SKIP_3) | instid1(VALU_DEP_1)
	v_cmp_le_i32_e64 s0, s15, v1
	s_or_b32 s1, s0, s1
	s_wait_loadcnt_dscnt 0x0
	v_pk_mul_f32 v[12:13], v[10:11], v[8:9] op_sel:[1,1] op_sel_hi:[0,1]
	v_pk_fma_f32 v[14:15], v[10:11], v[8:9], v[12:13] op_sel_hi:[1,0,1]
	v_pk_fma_f32 v[8:9], v[10:11], v[8:9], v[12:13] neg_lo:[0,0,1] neg_hi:[0,0,1]
	s_delay_alu instid0(VALU_DEP_2) | instskip(NEXT) | instid1(VALU_DEP_1)
	v_mov_b32_e32 v9, v15
	v_pk_add_f32 v[2:3], v[2:3], v[8:9]
	s_and_not1_b32 exec_lo, exec_lo, s1
	s_cbranch_execnz .LBB8_4
; %bb.5:
	s_or_b32 exec_lo, exec_lo, s1
.LBB8_6:
	s_delay_alu instid0(SALU_CYCLE_1) | instskip(SKIP_2) | instid1(VALU_DEP_1)
	s_or_b32 exec_lo, exec_lo, s19
	v_mbcnt_lo_u32_b32 v1, -1, 0
	s_mov_b32 s1, exec_lo
	v_cmp_ne_u32_e64 s0, 31, v1
	s_delay_alu instid0(VALU_DEP_1) | instskip(SKIP_1) | instid1(VALU_DEP_2)
	v_add_co_ci_u32_e64 v4, null, 0, v1, s0
	v_cmp_gt_u32_e64 s0, 30, v1
	v_lshlrev_b32_e32 v5, 2, v4
	s_delay_alu instid0(VALU_DEP_2)
	v_cndmask_b32_e64 v7, 0, 2, s0
	v_cmp_gt_u32_e64 s0, 28, v1
	ds_bpermute_b32 v4, v5, v2
	ds_bpermute_b32 v5, v5, v3
	v_add_lshl_u32 v7, v7, v1, 2
	s_wait_dscnt 0x0
	v_pk_add_f32 v[2:3], v[2:3], v[4:5]
	ds_bpermute_b32 v4, v7, v2
	ds_bpermute_b32 v5, v7, v3
	v_cndmask_b32_e64 v7, 0, 4, s0
	v_cmp_gt_u32_e64 s0, 24, v1
	s_delay_alu instid0(VALU_DEP_2)
	v_add_lshl_u32 v7, v7, v1, 2
	s_wait_dscnt 0x0
	v_pk_add_f32 v[2:3], v[2:3], v[4:5]
	ds_bpermute_b32 v4, v7, v2
	ds_bpermute_b32 v5, v7, v3
	v_cndmask_b32_e64 v7, 0, 8, s0
	s_delay_alu instid0(VALU_DEP_1)
	v_add_lshl_u32 v7, v7, v1, 2
	v_lshl_or_b32 v1, v1, 2, 64
	s_wait_dscnt 0x0
	v_pk_add_f32 v[2:3], v[2:3], v[4:5]
	ds_bpermute_b32 v4, v7, v2
	ds_bpermute_b32 v5, v7, v3
	s_wait_dscnt 0x0
	v_pk_add_f32 v[2:3], v[2:3], v[4:5]
	ds_bpermute_b32 v4, v1, v2
	ds_bpermute_b32 v5, v1, v3
	v_and_b32_e32 v1, 31, v0
	s_wait_dscnt 0x0
	v_pk_add_f32 v[2:3], v[2:3], v[4:5]
	s_delay_alu instid0(VALU_DEP_2)
	v_cmpx_eq_u32_e32 0, v1
; %bb.7:
	v_lshrrev_b32_e32 v1, 2, v0
	s_delay_alu instid0(VALU_DEP_1)
	v_add_nc_u32_e32 v1, 0, v1
	ds_store_2addr_b32 v1, v2, v3 offset1:1
; %bb.8:
	s_or_b32 exec_lo, exec_lo, s1
	s_delay_alu instid0(SALU_CYCLE_1)
	s_mov_b32 s1, exec_lo
	s_wait_dscnt 0x0
	s_barrier_signal -1
	s_barrier_wait -1
	v_cmpx_eq_u32_e32 0, v0
	s_cbranch_execz .LBB8_10
; %bb.9:
	v_mov_b32_e32 v1, 0
	ds_load_2addr_b64 v[8:11], v1 offset0:1 offset1:2
	ds_load_2addr_b64 v[12:15], v1 offset0:3 offset1:4
	;; [unrolled: 1-line block ×3, first 2 shown]
	s_wait_dscnt 0x2
	v_pk_add_f32 v[2:3], v[2:3], v[8:9]
	s_delay_alu instid0(VALU_DEP_1) | instskip(SKIP_3) | instid1(VALU_DEP_1)
	v_pk_add_f32 v[8:9], v[2:3], v[10:11]
	ds_load_2addr_b64 v[2:5], v1 offset0:7 offset1:8
	s_wait_dscnt 0x2
	v_pk_add_f32 v[8:9], v[8:9], v[12:13]
	v_pk_add_f32 v[12:13], v[8:9], v[14:15]
	ds_load_2addr_b64 v[8:11], v1 offset0:9 offset1:10
	s_wait_dscnt 0x2
	v_pk_add_f32 v[12:13], v[12:13], v[16:17]
	s_delay_alu instid0(VALU_DEP_1) | instskip(SKIP_3) | instid1(VALU_DEP_1)
	v_pk_add_f32 v[16:17], v[12:13], v[18:19]
	ds_load_2addr_b64 v[12:15], v1 offset0:11 offset1:12
	s_wait_dscnt 0x2
	v_pk_add_f32 v[2:3], v[16:17], v[2:3]
	v_pk_add_f32 v[16:17], v[2:3], v[4:5]
	ds_load_2addr_b64 v[2:5], v1 offset0:13 offset1:14
	;; [unrolled: 9-line block ×5, first 2 shown]
	s_wait_dscnt 0x2
	v_pk_add_f32 v[8:9], v[16:17], v[8:9]
	s_delay_alu instid0(VALU_DEP_1) | instskip(SKIP_3) | instid1(VALU_DEP_1)
	v_pk_add_f32 v[16:17], v[8:9], v[10:11]
	ds_load_2addr_b64 v[8:11], v1 offset0:27 offset1:28
	s_wait_dscnt 0x2
	v_pk_add_f32 v[12:13], v[16:17], v[12:13]
	v_pk_add_f32 v[12:13], v[12:13], v[14:15]
	s_wait_dscnt 0x1
	s_delay_alu instid0(VALU_DEP_1)
	v_pk_add_f32 v[2:3], v[12:13], v[2:3]
	ds_load_2addr_b64 v[12:15], v1 offset0:29 offset1:30
	v_pk_add_f32 v[2:3], v[2:3], v[4:5]
	ds_load_b64 v[4:5], v1 offset:248
	s_wait_dscnt 0x2
	v_pk_add_f32 v[2:3], v[2:3], v[8:9]
	s_delay_alu instid0(VALU_DEP_1) | instskip(SKIP_1) | instid1(VALU_DEP_1)
	v_pk_add_f32 v[2:3], v[2:3], v[10:11]
	s_wait_dscnt 0x1
	v_pk_add_f32 v[2:3], v[2:3], v[12:13]
	s_delay_alu instid0(VALU_DEP_1) | instskip(SKIP_1) | instid1(VALU_DEP_1)
	v_pk_add_f32 v[2:3], v[2:3], v[14:15]
	s_wait_dscnt 0x0
	v_pk_add_f32 v[2:3], v[2:3], v[4:5]
	ds_store_b64 v1, v[2:3]
.LBB8_10:
	s_or_b32 exec_lo, exec_lo, s1
	s_wait_dscnt 0x0
	s_barrier_signal -1
	s_barrier_wait -1
	s_and_saveexec_b32 s0, vcc_lo
	s_cbranch_execz .LBB8_13
; %bb.11:
	s_mul_u64 s[0:1], s[8:9], s[2:3]
	s_ashr_i32 s5, s14, 31
	s_lshl_b64 s[0:1], s[0:1], 3
	s_mov_b32 s4, s14
	s_add_nc_u64 s[0:1], s[6:7], s[0:1]
	s_lshl_b64 s[8:9], s[12:13], 3
	s_load_b64 s[2:3], s[0:1], 0x0
	v_mov_b32_e32 v1, 0
	s_wait_xcnt 0x0
	s_mov_b32 s1, 0
	s_lshl_b32 s0, s18, 3
	s_lshl_b64 s[6:7], s[16:17], 3
	s_add_nc_u64 s[10:11], s[10:11], s[0:1]
	ds_load_b64 v[8:9], v1
	s_wait_kmcnt 0x0
	s_xor_b32 s0, s3, 0x80000000
	s_wait_dscnt 0x0
	v_mul_f32_e32 v3, s2, v9
	v_mul_u64_e32 v[10:11], s[4:5], v[0:1]
	v_mul_f32_e32 v1, s2, v8
	s_delay_alu instid0(VALU_DEP_3) | instskip(NEXT) | instid1(VALU_DEP_2)
	v_xor_b32_e32 v4, 0x80000000, v3
	v_xor_b32_e32 v2, 0x80000000, v1
	v_add3_u32 v1, v6, 0, 0x100
	s_delay_alu instid0(VALU_DEP_2) | instskip(SKIP_1) | instid1(SALU_CYCLE_1)
	v_dual_fmac_f32 v2, s3, v9 :: v_dual_fmac_f32 v4, s0, v8
	s_add_nc_u64 s[2:3], s[10:11], s[8:9]
	s_add_nc_u64 s[2:3], s[2:3], s[6:7]
	s_delay_alu instid0(VALU_DEP_1)
	v_dual_mov_b32 v3, v2 :: v_dual_mov_b32 v5, v4
	v_lshl_add_u64 v[6:7], v[10:11], 3, s[2:3]
	s_lshl_b64 s[2:3], s[4:5], 13
.LBB8_12:                               ; =>This Inner Loop Header: Depth=1
	global_load_b64 v[8:9], v[6:7], off
	ds_load_b64 v[10:11], v1
	v_add_nc_u32_e32 v1, 0x2000, v1
	v_add_nc_u32_e32 v0, 0x400, v0
	s_delay_alu instid0(VALU_DEP_1) | instskip(SKIP_3) | instid1(VALU_DEP_1)
	v_cmp_le_i32_e32 vcc_lo, s15, v0
	s_or_b32 s1, vcc_lo, s1
	s_wait_dscnt 0x0
	v_pk_mul_f32 v[12:13], v[2:3], v[10:11]
	v_pk_fma_f32 v[14:15], v[4:5], v[10:11], v[12:13] op_sel:[0,1,0] op_sel_hi:[1,0,1] neg_lo:[0,0,1] neg_hi:[0,0,1]
	v_pk_fma_f32 v[10:11], v[4:5], v[10:11], v[12:13] op_sel:[0,1,0] op_sel_hi:[1,0,1]
	s_delay_alu instid0(VALU_DEP_2) | instskip(SKIP_1) | instid1(VALU_DEP_1)
	v_mov_b32_e32 v11, v15
	s_wait_loadcnt 0x0
	v_pk_add_f32 v[8:9], v[8:9], v[10:11]
	global_store_b64 v[6:7], v[8:9], off
	s_wait_xcnt 0x0
	v_add_nc_u64_e32 v[6:7], s[2:3], v[6:7]
	s_and_not1_b32 exec_lo, exec_lo, s1
	s_cbranch_execnz .LBB8_12
.LBB8_13:
	s_endpgm
	.section	.rodata,"a",@progbits
	.p2align	6, 0x0
	.amdhsa_kernel _ZN9rocsolver6v33100L17larf_right_kernelILi1024E19rocblas_complex_numIfEiPS3_EEvT1_S5_T2_lS5_lPKT0_lS6_lS5_l
		.amdhsa_group_segment_fixed_size 0
		.amdhsa_private_segment_fixed_size 0
		.amdhsa_kernarg_size 88
		.amdhsa_user_sgpr_count 2
		.amdhsa_user_sgpr_dispatch_ptr 0
		.amdhsa_user_sgpr_queue_ptr 0
		.amdhsa_user_sgpr_kernarg_segment_ptr 1
		.amdhsa_user_sgpr_dispatch_id 0
		.amdhsa_user_sgpr_kernarg_preload_length 0
		.amdhsa_user_sgpr_kernarg_preload_offset 0
		.amdhsa_user_sgpr_private_segment_size 0
		.amdhsa_wavefront_size32 1
		.amdhsa_uses_dynamic_stack 0
		.amdhsa_enable_private_segment 0
		.amdhsa_system_sgpr_workgroup_id_x 1
		.amdhsa_system_sgpr_workgroup_id_y 1
		.amdhsa_system_sgpr_workgroup_id_z 1
		.amdhsa_system_sgpr_workgroup_info 0
		.amdhsa_system_vgpr_workitem_id 0
		.amdhsa_next_free_vgpr 20
		.amdhsa_next_free_sgpr 26
		.amdhsa_named_barrier_count 0
		.amdhsa_reserve_vcc 1
		.amdhsa_float_round_mode_32 0
		.amdhsa_float_round_mode_16_64 0
		.amdhsa_float_denorm_mode_32 3
		.amdhsa_float_denorm_mode_16_64 3
		.amdhsa_fp16_overflow 0
		.amdhsa_memory_ordered 1
		.amdhsa_forward_progress 1
		.amdhsa_inst_pref_size 14
		.amdhsa_round_robin_scheduling 0
		.amdhsa_exception_fp_ieee_invalid_op 0
		.amdhsa_exception_fp_denorm_src 0
		.amdhsa_exception_fp_ieee_div_zero 0
		.amdhsa_exception_fp_ieee_overflow 0
		.amdhsa_exception_fp_ieee_underflow 0
		.amdhsa_exception_fp_ieee_inexact 0
		.amdhsa_exception_int_div_zero 0
	.end_amdhsa_kernel
	.section	.text._ZN9rocsolver6v33100L17larf_right_kernelILi1024E19rocblas_complex_numIfEiPS3_EEvT1_S5_T2_lS5_lPKT0_lS6_lS5_l,"axG",@progbits,_ZN9rocsolver6v33100L17larf_right_kernelILi1024E19rocblas_complex_numIfEiPS3_EEvT1_S5_T2_lS5_lPKT0_lS6_lS5_l,comdat
.Lfunc_end8:
	.size	_ZN9rocsolver6v33100L17larf_right_kernelILi1024E19rocblas_complex_numIfEiPS3_EEvT1_S5_T2_lS5_lPKT0_lS6_lS5_l, .Lfunc_end8-_ZN9rocsolver6v33100L17larf_right_kernelILi1024E19rocblas_complex_numIfEiPS3_EEvT1_S5_T2_lS5_lPKT0_lS6_lS5_l
                                        ; -- End function
	.set _ZN9rocsolver6v33100L17larf_right_kernelILi1024E19rocblas_complex_numIfEiPS3_EEvT1_S5_T2_lS5_lPKT0_lS6_lS5_l.num_vgpr, 20
	.set _ZN9rocsolver6v33100L17larf_right_kernelILi1024E19rocblas_complex_numIfEiPS3_EEvT1_S5_T2_lS5_lPKT0_lS6_lS5_l.num_agpr, 0
	.set _ZN9rocsolver6v33100L17larf_right_kernelILi1024E19rocblas_complex_numIfEiPS3_EEvT1_S5_T2_lS5_lPKT0_lS6_lS5_l.numbered_sgpr, 26
	.set _ZN9rocsolver6v33100L17larf_right_kernelILi1024E19rocblas_complex_numIfEiPS3_EEvT1_S5_T2_lS5_lPKT0_lS6_lS5_l.num_named_barrier, 0
	.set _ZN9rocsolver6v33100L17larf_right_kernelILi1024E19rocblas_complex_numIfEiPS3_EEvT1_S5_T2_lS5_lPKT0_lS6_lS5_l.private_seg_size, 0
	.set _ZN9rocsolver6v33100L17larf_right_kernelILi1024E19rocblas_complex_numIfEiPS3_EEvT1_S5_T2_lS5_lPKT0_lS6_lS5_l.uses_vcc, 1
	.set _ZN9rocsolver6v33100L17larf_right_kernelILi1024E19rocblas_complex_numIfEiPS3_EEvT1_S5_T2_lS5_lPKT0_lS6_lS5_l.uses_flat_scratch, 0
	.set _ZN9rocsolver6v33100L17larf_right_kernelILi1024E19rocblas_complex_numIfEiPS3_EEvT1_S5_T2_lS5_lPKT0_lS6_lS5_l.has_dyn_sized_stack, 0
	.set _ZN9rocsolver6v33100L17larf_right_kernelILi1024E19rocblas_complex_numIfEiPS3_EEvT1_S5_T2_lS5_lPKT0_lS6_lS5_l.has_recursion, 0
	.set _ZN9rocsolver6v33100L17larf_right_kernelILi1024E19rocblas_complex_numIfEiPS3_EEvT1_S5_T2_lS5_lPKT0_lS6_lS5_l.has_indirect_call, 0
	.section	.AMDGPU.csdata,"",@progbits
; Kernel info:
; codeLenInByte = 1712
; TotalNumSgprs: 28
; NumVgprs: 20
; ScratchSize: 0
; MemoryBound: 0
; FloatMode: 240
; IeeeMode: 1
; LDSByteSize: 0 bytes/workgroup (compile time only)
; SGPRBlocks: 0
; VGPRBlocks: 1
; NumSGPRsForWavesPerEU: 28
; NumVGPRsForWavesPerEU: 20
; NamedBarCnt: 0
; Occupancy: 16
; WaveLimiterHint : 0
; COMPUTE_PGM_RSRC2:SCRATCH_EN: 0
; COMPUTE_PGM_RSRC2:USER_SGPR: 2
; COMPUTE_PGM_RSRC2:TRAP_HANDLER: 0
; COMPUTE_PGM_RSRC2:TGID_X_EN: 1
; COMPUTE_PGM_RSRC2:TGID_Y_EN: 1
; COMPUTE_PGM_RSRC2:TGID_Z_EN: 1
; COMPUTE_PGM_RSRC2:TIDIG_COMP_CNT: 0
	.section	.text._ZN9rocsolver6v33100L6iota_nI19rocblas_complex_numIdEEEvPT_jS4_,"axG",@progbits,_ZN9rocsolver6v33100L6iota_nI19rocblas_complex_numIdEEEvPT_jS4_,comdat
	.globl	_ZN9rocsolver6v33100L6iota_nI19rocblas_complex_numIdEEEvPT_jS4_ ; -- Begin function _ZN9rocsolver6v33100L6iota_nI19rocblas_complex_numIdEEEvPT_jS4_
	.p2align	8
	.type	_ZN9rocsolver6v33100L6iota_nI19rocblas_complex_numIdEEEvPT_jS4_,@function
_ZN9rocsolver6v33100L6iota_nI19rocblas_complex_numIdEEEvPT_jS4_: ; @_ZN9rocsolver6v33100L6iota_nI19rocblas_complex_numIdEEEvPT_jS4_
; %bb.0:
	s_load_b32 s2, s[0:1], 0x8
	s_wait_kmcnt 0x0
	v_cmp_gt_u32_e32 vcc_lo, s2, v0
	s_and_saveexec_b32 s2, vcc_lo
	s_cbranch_execz .LBB9_2
; %bb.1:
	v_cvt_f64_u32_e32 v[2:3], v0
	s_load_b128 s[4:7], s[0:1], 0x10
	s_wait_kmcnt 0x0
	v_add_f64_e64 v[4:5], s[6:7], 0
	s_load_b64 s[0:1], s[0:1], 0x0
	s_delay_alu instid0(VALU_DEP_2)
	v_add_f64_e32 v[2:3], s[4:5], v[2:3]
	s_wait_kmcnt 0x0
	global_store_b128 v0, v[2:5], s[0:1] scale_offset
.LBB9_2:
	s_endpgm
	.section	.rodata,"a",@progbits
	.p2align	6, 0x0
	.amdhsa_kernel _ZN9rocsolver6v33100L6iota_nI19rocblas_complex_numIdEEEvPT_jS4_
		.amdhsa_group_segment_fixed_size 0
		.amdhsa_private_segment_fixed_size 0
		.amdhsa_kernarg_size 32
		.amdhsa_user_sgpr_count 2
		.amdhsa_user_sgpr_dispatch_ptr 0
		.amdhsa_user_sgpr_queue_ptr 0
		.amdhsa_user_sgpr_kernarg_segment_ptr 1
		.amdhsa_user_sgpr_dispatch_id 0
		.amdhsa_user_sgpr_kernarg_preload_length 0
		.amdhsa_user_sgpr_kernarg_preload_offset 0
		.amdhsa_user_sgpr_private_segment_size 0
		.amdhsa_wavefront_size32 1
		.amdhsa_uses_dynamic_stack 0
		.amdhsa_enable_private_segment 0
		.amdhsa_system_sgpr_workgroup_id_x 1
		.amdhsa_system_sgpr_workgroup_id_y 0
		.amdhsa_system_sgpr_workgroup_id_z 0
		.amdhsa_system_sgpr_workgroup_info 0
		.amdhsa_system_vgpr_workitem_id 0
		.amdhsa_next_free_vgpr 6
		.amdhsa_next_free_sgpr 8
		.amdhsa_named_barrier_count 0
		.amdhsa_reserve_vcc 1
		.amdhsa_float_round_mode_32 0
		.amdhsa_float_round_mode_16_64 0
		.amdhsa_float_denorm_mode_32 3
		.amdhsa_float_denorm_mode_16_64 3
		.amdhsa_fp16_overflow 0
		.amdhsa_memory_ordered 1
		.amdhsa_forward_progress 1
		.amdhsa_inst_pref_size 1
		.amdhsa_round_robin_scheduling 0
		.amdhsa_exception_fp_ieee_invalid_op 0
		.amdhsa_exception_fp_denorm_src 0
		.amdhsa_exception_fp_ieee_div_zero 0
		.amdhsa_exception_fp_ieee_overflow 0
		.amdhsa_exception_fp_ieee_underflow 0
		.amdhsa_exception_fp_ieee_inexact 0
		.amdhsa_exception_int_div_zero 0
	.end_amdhsa_kernel
	.section	.text._ZN9rocsolver6v33100L6iota_nI19rocblas_complex_numIdEEEvPT_jS4_,"axG",@progbits,_ZN9rocsolver6v33100L6iota_nI19rocblas_complex_numIdEEEvPT_jS4_,comdat
.Lfunc_end9:
	.size	_ZN9rocsolver6v33100L6iota_nI19rocblas_complex_numIdEEEvPT_jS4_, .Lfunc_end9-_ZN9rocsolver6v33100L6iota_nI19rocblas_complex_numIdEEEvPT_jS4_
                                        ; -- End function
	.set _ZN9rocsolver6v33100L6iota_nI19rocblas_complex_numIdEEEvPT_jS4_.num_vgpr, 6
	.set _ZN9rocsolver6v33100L6iota_nI19rocblas_complex_numIdEEEvPT_jS4_.num_agpr, 0
	.set _ZN9rocsolver6v33100L6iota_nI19rocblas_complex_numIdEEEvPT_jS4_.numbered_sgpr, 8
	.set _ZN9rocsolver6v33100L6iota_nI19rocblas_complex_numIdEEEvPT_jS4_.num_named_barrier, 0
	.set _ZN9rocsolver6v33100L6iota_nI19rocblas_complex_numIdEEEvPT_jS4_.private_seg_size, 0
	.set _ZN9rocsolver6v33100L6iota_nI19rocblas_complex_numIdEEEvPT_jS4_.uses_vcc, 1
	.set _ZN9rocsolver6v33100L6iota_nI19rocblas_complex_numIdEEEvPT_jS4_.uses_flat_scratch, 0
	.set _ZN9rocsolver6v33100L6iota_nI19rocblas_complex_numIdEEEvPT_jS4_.has_dyn_sized_stack, 0
	.set _ZN9rocsolver6v33100L6iota_nI19rocblas_complex_numIdEEEvPT_jS4_.has_recursion, 0
	.set _ZN9rocsolver6v33100L6iota_nI19rocblas_complex_numIdEEEvPT_jS4_.has_indirect_call, 0
	.section	.AMDGPU.csdata,"",@progbits
; Kernel info:
; codeLenInByte = 84
; TotalNumSgprs: 10
; NumVgprs: 6
; ScratchSize: 0
; MemoryBound: 0
; FloatMode: 240
; IeeeMode: 1
; LDSByteSize: 0 bytes/workgroup (compile time only)
; SGPRBlocks: 0
; VGPRBlocks: 0
; NumSGPRsForWavesPerEU: 10
; NumVGPRsForWavesPerEU: 6
; NamedBarCnt: 0
; Occupancy: 16
; WaveLimiterHint : 0
; COMPUTE_PGM_RSRC2:SCRATCH_EN: 0
; COMPUTE_PGM_RSRC2:USER_SGPR: 2
; COMPUTE_PGM_RSRC2:TRAP_HANDLER: 0
; COMPUTE_PGM_RSRC2:TGID_X_EN: 1
; COMPUTE_PGM_RSRC2:TGID_Y_EN: 0
; COMPUTE_PGM_RSRC2:TGID_Z_EN: 0
; COMPUTE_PGM_RSRC2:TIDIG_COMP_CNT: 0
	.section	.text._ZN9rocsolver6v33100L16larf_left_kernelILi1024E19rocblas_complex_numIdEiPS3_EEvT1_S5_T2_lS5_lPKT0_lS6_lS5_l,"axG",@progbits,_ZN9rocsolver6v33100L16larf_left_kernelILi1024E19rocblas_complex_numIdEiPS3_EEvT1_S5_T2_lS5_lPKT0_lS6_lS5_l,comdat
	.globl	_ZN9rocsolver6v33100L16larf_left_kernelILi1024E19rocblas_complex_numIdEiPS3_EEvT1_S5_T2_lS5_lPKT0_lS6_lS5_l ; -- Begin function _ZN9rocsolver6v33100L16larf_left_kernelILi1024E19rocblas_complex_numIdEiPS3_EEvT1_S5_T2_lS5_lPKT0_lS6_lS5_l
	.p2align	8
	.type	_ZN9rocsolver6v33100L16larf_left_kernelILi1024E19rocblas_complex_numIdEiPS3_EEvT1_S5_T2_lS5_lPKT0_lS6_lS5_l,@function
_ZN9rocsolver6v33100L16larf_left_kernelILi1024E19rocblas_complex_numIdEiPS3_EEvT1_S5_T2_lS5_lPKT0_lS6_lS5_l: ; @_ZN9rocsolver6v33100L16larf_left_kernelILi1024E19rocblas_complex_numIdEiPS3_EEvT1_S5_T2_lS5_lPKT0_lS6_lS5_l
; %bb.0:
	s_clause 0x3
	s_load_b96 s[12:14], s[0:1], 0x40
	s_load_b64 s[16:17], s[0:1], 0x50
	s_load_b32 s18, s[0:1], 0x0
	s_load_b256 s[4:11], s[0:1], 0x20
	s_bfe_u32 s2, ttmp6, 0x40010
	s_bfe_u32 s20, ttmp6, 0x40014
	s_and_b32 s15, ttmp7, 0xffff
	s_lshr_b32 s22, ttmp7, 16
	s_add_co_i32 s2, s2, 1
	s_add_co_i32 s20, s20, 1
	s_bfe_u32 s19, ttmp6, 0x40004
	s_bfe_u32 s21, ttmp6, 0x40008
	s_mul_i32 s2, s15, s2
	s_mul_i32 s20, s22, s20
	s_getreg_b32 s23, hwreg(HW_REG_IB_STS2, 6, 4)
	v_mov_b64_e32 v[4:5], 0
	s_add_co_i32 s19, s19, s2
	s_add_co_i32 s2, s21, s20
	v_mov_b64_e32 v[6:7], 0
	s_mov_b32 s3, 0
	s_wait_kmcnt 0x0
	s_ashr_i32 s21, s14, 31
	s_cmp_eq_u32 s23, 0
	v_cmp_gt_i32_e32 vcc_lo, s18, v0
	v_lshlrev_b32_e32 v2, 4, v0
	s_mov_b32 s20, s14
	s_cselect_b32 s2, s22, s2
	s_cselect_b32 s22, s15, s19
	s_mov_b32 s23, s3
	s_mul_u64 s[14:15], s[16:17], s[2:3]
	s_mul_u64 s[16:17], s[22:23], s[20:21]
	s_and_saveexec_b32 s19, vcc_lo
	s_cbranch_execz .LBB10_6
; %bb.1:
	s_clause 0x1
	s_load_b32 s24, s[0:1], 0x18
	s_load_b128 s[20:23], s[0:1], 0x8
	v_dual_mov_b32 v1, 0 :: v_dual_mov_b32 v6, v0
	s_wait_xcnt 0x0
	s_sub_co_i32 s1, 1, s18
	s_mul_u64 s[4:5], s[4:5], s[2:3]
	s_wait_kmcnt 0x0
	s_ashr_i32 s25, s24, 31
	s_mul_i32 s1, s24, s1
	v_mul_u64_e32 v[4:5], s[24:25], v[0:1]
	v_cmp_lt_i64_e64 s0, s[24:25], 1
	v_add3_u32 v1, v2, 0, 0x200
	s_delay_alu instid0(VALU_DEP_1)
	v_mov_b32_e32 v3, v1
	s_and_b32 s0, s0, exec_lo
	s_cselect_b32 s0, s1, 0
	s_lshl_b64 s[22:23], s[22:23], 4
	s_ashr_i32 s1, s0, 31
	s_lshl_b64 s[4:5], s[4:5], 4
	s_lshl_b64 s[0:1], s[0:1], 4
	s_delay_alu instid0(SALU_CYCLE_1) | instskip(NEXT) | instid1(SALU_CYCLE_1)
	s_add_nc_u64 s[0:1], s[20:21], s[0:1]
	s_add_nc_u64 s[0:1], s[0:1], s[22:23]
	s_delay_alu instid0(SALU_CYCLE_1)
	s_add_nc_u64 s[0:1], s[0:1], s[4:5]
	s_lshl_b64 s[4:5], s[24:25], 14
	v_lshl_add_u64 v[4:5], v[4:5], 4, s[0:1]
	s_mov_b32 s1, s3
.LBB10_2:                               ; =>This Inner Loop Header: Depth=1
	global_load_b128 v[8:11], v[4:5], off
	v_add_nc_u32_e32 v6, 0x400, v6
	s_wait_xcnt 0x0
	v_add_nc_u64_e32 v[4:5], s[4:5], v[4:5]
	s_delay_alu instid0(VALU_DEP_2)
	v_cmp_le_i32_e64 s0, s18, v6
	s_or_b32 s1, s0, s1
	s_wait_loadcnt 0x0
	ds_store_2addr_b64 v3, v[8:9], v[10:11] offset1:1
	v_add_nc_u32_e32 v3, 0x4000, v3
	s_and_not1_b32 exec_lo, exec_lo, s1
	s_cbranch_execnz .LBB10_2
; %bb.3:
	s_or_b32 exec_lo, exec_lo, s1
	s_lshl_b64 s[0:1], s[14:15], 4
	s_lshl_b64 s[4:5], s[16:17], 4
	v_dual_mov_b32 v5, 0 :: v_dual_lshlrev_b32 v4, 4, v0
	s_add_nc_u64 s[0:1], s[0:1], s[4:5]
	s_lshl_b64 s[4:5], s[12:13], 4
	v_mov_b32_e32 v3, v0
	s_add_nc_u64 s[0:1], s[0:1], s[4:5]
	s_delay_alu instid0(SALU_CYCLE_1) | instskip(NEXT) | instid1(SALU_CYCLE_1)
	s_add_nc_u64 s[0:1], s[10:11], s[0:1]
	v_add_nc_u64_e32 v[6:7], s[0:1], v[4:5]
	v_mov_b64_e32 v[4:5], 0
	s_mov_b32 s1, 0
	s_delay_alu instid0(VALU_DEP_2)
	v_add_nc_u64_e32 v[8:9], 8, v[6:7]
	v_mov_b64_e32 v[6:7], 0
.LBB10_4:                               ; =>This Inner Loop Header: Depth=1
	global_load_b128 v[10:13], v[8:9], off offset:-8
	ds_load_2addr_b64 v[14:17], v1 offset1:1
	v_add_nc_u32_e32 v3, 0x400, v3
	s_wait_xcnt 0x0
	v_add_nc_u64_e32 v[8:9], 0x4000, v[8:9]
	v_add_nc_u32_e32 v1, 0x4000, v1
	s_delay_alu instid0(VALU_DEP_3) | instskip(SKIP_4) | instid1(VALU_DEP_2)
	v_cmp_le_i32_e64 s0, s18, v3
	s_or_b32 s1, s0, s1
	s_wait_loadcnt_dscnt 0x0
	v_mul_f64_e32 v[18:19], v[12:13], v[16:17]
	v_mul_f64_e32 v[12:13], v[12:13], v[14:15]
	v_fmac_f64_e32 v[18:19], v[10:11], v[14:15]
	s_delay_alu instid0(VALU_DEP_2) | instskip(NEXT) | instid1(VALU_DEP_2)
	v_fma_f64 v[10:11], v[10:11], v[16:17], -v[12:13]
	v_add_f64_e32 v[6:7], v[6:7], v[18:19]
	s_delay_alu instid0(VALU_DEP_2)
	v_add_f64_e32 v[4:5], v[4:5], v[10:11]
	s_and_not1_b32 exec_lo, exec_lo, s1
	s_cbranch_execnz .LBB10_4
; %bb.5:
	s_or_b32 exec_lo, exec_lo, s1
.LBB10_6:
	s_delay_alu instid0(SALU_CYCLE_1) | instskip(SKIP_2) | instid1(VALU_DEP_1)
	s_or_b32 exec_lo, exec_lo, s19
	v_mbcnt_lo_u32_b32 v1, -1, 0
	s_mov_b32 s1, exec_lo
	v_cmp_ne_u32_e64 s0, 31, v1
	s_delay_alu instid0(VALU_DEP_1) | instskip(SKIP_1) | instid1(VALU_DEP_2)
	v_add_co_ci_u32_e64 v3, null, 0, v1, s0
	v_cmp_gt_u32_e64 s0, 30, v1
	v_lshlrev_b32_e32 v3, 2, v3
	ds_bpermute_b32 v8, v3, v6
	ds_bpermute_b32 v9, v3, v7
	s_wait_dscnt 0x0
	v_add_f64_e32 v[6:7], v[6:7], v[8:9]
	ds_bpermute_b32 v10, v3, v4
	ds_bpermute_b32 v11, v3, v5
	v_cndmask_b32_e64 v3, 0, 2, s0
	v_cmp_gt_u32_e64 s0, 28, v1
	s_delay_alu instid0(VALU_DEP_2)
	v_add_lshl_u32 v3, v3, v1, 2
	s_wait_dscnt 0x0
	v_add_f64_e32 v[4:5], v[4:5], v[10:11]
	ds_bpermute_b32 v8, v3, v6
	ds_bpermute_b32 v9, v3, v7
	s_wait_dscnt 0x0
	v_add_f64_e32 v[6:7], v[6:7], v[8:9]
	ds_bpermute_b32 v10, v3, v4
	ds_bpermute_b32 v11, v3, v5
	v_cndmask_b32_e64 v3, 0, 4, s0
	v_cmp_gt_u32_e64 s0, 24, v1
	s_delay_alu instid0(VALU_DEP_2)
	v_add_lshl_u32 v3, v3, v1, 2
	s_wait_dscnt 0x0
	v_add_f64_e32 v[4:5], v[4:5], v[10:11]
	ds_bpermute_b32 v8, v3, v6
	ds_bpermute_b32 v9, v3, v7
	s_wait_dscnt 0x0
	v_add_f64_e32 v[6:7], v[6:7], v[8:9]
	ds_bpermute_b32 v10, v3, v4
	ds_bpermute_b32 v11, v3, v5
	v_cndmask_b32_e64 v3, 0, 8, s0
	s_delay_alu instid0(VALU_DEP_1)
	v_add_lshl_u32 v3, v3, v1, 2
	v_lshl_or_b32 v1, v1, 2, 64
	s_wait_dscnt 0x0
	v_add_f64_e32 v[4:5], v[4:5], v[10:11]
	ds_bpermute_b32 v8, v3, v6
	ds_bpermute_b32 v9, v3, v7
	s_wait_dscnt 0x0
	v_add_f64_e32 v[6:7], v[6:7], v[8:9]
	ds_bpermute_b32 v10, v3, v4
	ds_bpermute_b32 v11, v3, v5
	;; [unrolled: 4-line block ×4, first 2 shown]
	s_wait_dscnt 0x0
	v_dual_add_f64 v[6:7], v[8:9], v[10:11] :: v_dual_bitop2_b32 v1, 31, v0 bitop3:0x40
	s_delay_alu instid0(VALU_DEP_1)
	v_cmpx_eq_u32_e32 0, v1
; %bb.7:
	v_lshrrev_b32_e32 v1, 1, v0
	s_delay_alu instid0(VALU_DEP_1)
	v_add_nc_u32_e32 v1, 0, v1
	ds_store_2addr_b64 v1, v[4:5], v[6:7] offset1:1
; %bb.8:
	s_or_b32 exec_lo, exec_lo, s1
	s_delay_alu instid0(SALU_CYCLE_1)
	s_mov_b32 s1, exec_lo
	s_wait_dscnt 0x0
	s_barrier_signal -1
	s_barrier_wait -1
	v_cmpx_eq_u32_e32 0, v0
	s_cbranch_execz .LBB10_10
; %bb.9:
	v_mov_b32_e32 v1, 0
	ds_load_2addr_b64 v[8:11], v1 offset0:2 offset1:3
	ds_load_2addr_b64 v[12:15], v1 offset0:4 offset1:5
	s_wait_dscnt 0x1
	v_add_f64_e32 v[4:5], v[4:5], v[8:9]
	v_add_f64_e32 v[6:7], v[6:7], v[10:11]
	s_wait_dscnt 0x0
	s_delay_alu instid0(VALU_DEP_2) | instskip(NEXT) | instid1(VALU_DEP_2)
	v_add_f64_e32 v[12:13], v[4:5], v[12:13]
	v_add_f64_e32 v[14:15], v[6:7], v[14:15]
	ds_load_2addr_b64 v[4:7], v1 offset0:6 offset1:7
	ds_load_2addr_b64 v[8:11], v1 offset0:8 offset1:9
	s_wait_dscnt 0x1
	v_add_f64_e32 v[4:5], v[12:13], v[4:5]
	v_add_f64_e32 v[6:7], v[14:15], v[6:7]
	s_wait_dscnt 0x0
	s_delay_alu instid0(VALU_DEP_2) | instskip(NEXT) | instid1(VALU_DEP_2)
	v_add_f64_e32 v[12:13], v[4:5], v[8:9]
	v_add_f64_e32 v[14:15], v[6:7], v[10:11]
	;; [unrolled: 9-line block ×15, first 2 shown]
	ds_load_2addr_b64 v[4:7], v1 offset0:62 offset1:63
	s_wait_dscnt 0x0
	v_add_f64_e32 v[4:5], v[8:9], v[4:5]
	v_add_f64_e32 v[6:7], v[10:11], v[6:7]
	ds_store_2addr_b64 v1, v[4:5], v[6:7] offset1:1
.LBB10_10:
	s_or_b32 exec_lo, exec_lo, s1
	s_wait_dscnt 0x0
	s_barrier_signal -1
	s_barrier_wait -1
	s_and_saveexec_b32 s0, vcc_lo
	s_cbranch_execz .LBB10_13
; %bb.11:
	s_mul_u64 s[0:1], s[8:9], s[2:3]
	v_add3_u32 v1, v2, 0, 0x200
	s_lshl_b64 s[0:1], s[0:1], 4
	s_delay_alu instid0(SALU_CYCLE_1)
	s_add_nc_u64 s[4:5], s[6:7], s[0:1]
	s_load_b128 s[0:3], s[4:5], 0x0
	v_mov_b32_e32 v3, 0
	ds_load_2addr_b64 v[4:7], v3 offset1:1
	s_wait_dscnt 0x0
	s_wait_kmcnt 0x0
	v_mul_f64_e32 v[8:9], s[2:3], v[6:7]
	v_mul_f64_e32 v[10:11], s[2:3], v[4:5]
	s_lshl_b64 s[2:3], s[16:17], 4
	s_delay_alu instid0(VALU_DEP_2) | instskip(NEXT) | instid1(VALU_DEP_2)
	v_fma_f64 v[4:5], v[4:5], -s[0:1], -v[8:9]
	v_fma_f64 v[6:7], s[0:1], v[6:7], -v[10:11]
	s_lshl_b64 s[0:1], s[14:15], 4
	s_delay_alu instid0(SALU_CYCLE_1) | instskip(SKIP_1) | instid1(SALU_CYCLE_1)
	s_add_nc_u64 s[0:1], s[0:1], s[2:3]
	s_lshl_b64 s[2:3], s[12:13], 4
	s_add_nc_u64 s[0:1], s[0:1], s[2:3]
	s_delay_alu instid0(SALU_CYCLE_1) | instskip(NEXT) | instid1(SALU_CYCLE_1)
	s_add_nc_u64 s[0:1], s[10:11], s[0:1]
	v_add_nc_u64_e32 v[8:9], s[0:1], v[2:3]
	s_mov_b32 s0, 0
	s_delay_alu instid0(VALU_DEP_1)
	v_add_nc_u64_e32 v[8:9], 8, v[8:9]
.LBB10_12:                              ; =>This Inner Loop Header: Depth=1
	global_load_b128 v[10:13], v[8:9], off offset:-8
	ds_load_2addr_b64 v[14:17], v1 offset1:1
	v_add_nc_u32_e32 v0, 0x400, v0
	v_add_nc_u32_e32 v1, 0x4000, v1
	s_delay_alu instid0(VALU_DEP_2) | instskip(SKIP_4) | instid1(VALU_DEP_2)
	v_cmp_le_i32_e32 vcc_lo, s18, v0
	s_or_b32 s0, vcc_lo, s0
	s_wait_dscnt 0x0
	v_mul_f64_e32 v[2:3], v[6:7], v[16:17]
	v_mul_f64_e32 v[16:17], v[4:5], v[16:17]
	v_fma_f64 v[2:3], v[4:5], v[14:15], -v[2:3]
	s_delay_alu instid0(VALU_DEP_2) | instskip(SKIP_1) | instid1(VALU_DEP_2)
	v_fmac_f64_e32 v[16:17], v[6:7], v[14:15]
	s_wait_loadcnt 0x0
	v_add_f64_e32 v[10:11], v[10:11], v[2:3]
	s_delay_alu instid0(VALU_DEP_2)
	v_add_f64_e32 v[12:13], v[16:17], v[12:13]
	global_store_b128 v[8:9], v[10:13], off offset:-8
	s_wait_xcnt 0x0
	v_add_nc_u64_e32 v[8:9], 0x4000, v[8:9]
	s_and_not1_b32 exec_lo, exec_lo, s0
	s_cbranch_execnz .LBB10_12
.LBB10_13:
	s_endpgm
	.section	.rodata,"a",@progbits
	.p2align	6, 0x0
	.amdhsa_kernel _ZN9rocsolver6v33100L16larf_left_kernelILi1024E19rocblas_complex_numIdEiPS3_EEvT1_S5_T2_lS5_lPKT0_lS6_lS5_l
		.amdhsa_group_segment_fixed_size 0
		.amdhsa_private_segment_fixed_size 0
		.amdhsa_kernarg_size 88
		.amdhsa_user_sgpr_count 2
		.amdhsa_user_sgpr_dispatch_ptr 0
		.amdhsa_user_sgpr_queue_ptr 0
		.amdhsa_user_sgpr_kernarg_segment_ptr 1
		.amdhsa_user_sgpr_dispatch_id 0
		.amdhsa_user_sgpr_kernarg_preload_length 0
		.amdhsa_user_sgpr_kernarg_preload_offset 0
		.amdhsa_user_sgpr_private_segment_size 0
		.amdhsa_wavefront_size32 1
		.amdhsa_uses_dynamic_stack 0
		.amdhsa_enable_private_segment 0
		.amdhsa_system_sgpr_workgroup_id_x 1
		.amdhsa_system_sgpr_workgroup_id_y 1
		.amdhsa_system_sgpr_workgroup_id_z 1
		.amdhsa_system_sgpr_workgroup_info 0
		.amdhsa_system_vgpr_workitem_id 0
		.amdhsa_next_free_vgpr 20
		.amdhsa_next_free_sgpr 26
		.amdhsa_named_barrier_count 0
		.amdhsa_reserve_vcc 1
		.amdhsa_float_round_mode_32 0
		.amdhsa_float_round_mode_16_64 0
		.amdhsa_float_denorm_mode_32 3
		.amdhsa_float_denorm_mode_16_64 3
		.amdhsa_fp16_overflow 0
		.amdhsa_memory_ordered 1
		.amdhsa_forward_progress 1
		.amdhsa_inst_pref_size 16
		.amdhsa_round_robin_scheduling 0
		.amdhsa_exception_fp_ieee_invalid_op 0
		.amdhsa_exception_fp_denorm_src 0
		.amdhsa_exception_fp_ieee_div_zero 0
		.amdhsa_exception_fp_ieee_overflow 0
		.amdhsa_exception_fp_ieee_underflow 0
		.amdhsa_exception_fp_ieee_inexact 0
		.amdhsa_exception_int_div_zero 0
	.end_amdhsa_kernel
	.section	.text._ZN9rocsolver6v33100L16larf_left_kernelILi1024E19rocblas_complex_numIdEiPS3_EEvT1_S5_T2_lS5_lPKT0_lS6_lS5_l,"axG",@progbits,_ZN9rocsolver6v33100L16larf_left_kernelILi1024E19rocblas_complex_numIdEiPS3_EEvT1_S5_T2_lS5_lPKT0_lS6_lS5_l,comdat
.Lfunc_end10:
	.size	_ZN9rocsolver6v33100L16larf_left_kernelILi1024E19rocblas_complex_numIdEiPS3_EEvT1_S5_T2_lS5_lPKT0_lS6_lS5_l, .Lfunc_end10-_ZN9rocsolver6v33100L16larf_left_kernelILi1024E19rocblas_complex_numIdEiPS3_EEvT1_S5_T2_lS5_lPKT0_lS6_lS5_l
                                        ; -- End function
	.set _ZN9rocsolver6v33100L16larf_left_kernelILi1024E19rocblas_complex_numIdEiPS3_EEvT1_S5_T2_lS5_lPKT0_lS6_lS5_l.num_vgpr, 20
	.set _ZN9rocsolver6v33100L16larf_left_kernelILi1024E19rocblas_complex_numIdEiPS3_EEvT1_S5_T2_lS5_lPKT0_lS6_lS5_l.num_agpr, 0
	.set _ZN9rocsolver6v33100L16larf_left_kernelILi1024E19rocblas_complex_numIdEiPS3_EEvT1_S5_T2_lS5_lPKT0_lS6_lS5_l.numbered_sgpr, 26
	.set _ZN9rocsolver6v33100L16larf_left_kernelILi1024E19rocblas_complex_numIdEiPS3_EEvT1_S5_T2_lS5_lPKT0_lS6_lS5_l.num_named_barrier, 0
	.set _ZN9rocsolver6v33100L16larf_left_kernelILi1024E19rocblas_complex_numIdEiPS3_EEvT1_S5_T2_lS5_lPKT0_lS6_lS5_l.private_seg_size, 0
	.set _ZN9rocsolver6v33100L16larf_left_kernelILi1024E19rocblas_complex_numIdEiPS3_EEvT1_S5_T2_lS5_lPKT0_lS6_lS5_l.uses_vcc, 1
	.set _ZN9rocsolver6v33100L16larf_left_kernelILi1024E19rocblas_complex_numIdEiPS3_EEvT1_S5_T2_lS5_lPKT0_lS6_lS5_l.uses_flat_scratch, 0
	.set _ZN9rocsolver6v33100L16larf_left_kernelILi1024E19rocblas_complex_numIdEiPS3_EEvT1_S5_T2_lS5_lPKT0_lS6_lS5_l.has_dyn_sized_stack, 0
	.set _ZN9rocsolver6v33100L16larf_left_kernelILi1024E19rocblas_complex_numIdEiPS3_EEvT1_S5_T2_lS5_lPKT0_lS6_lS5_l.has_recursion, 0
	.set _ZN9rocsolver6v33100L16larf_left_kernelILi1024E19rocblas_complex_numIdEiPS3_EEvT1_S5_T2_lS5_lPKT0_lS6_lS5_l.has_indirect_call, 0
	.section	.AMDGPU.csdata,"",@progbits
; Kernel info:
; codeLenInByte = 1992
; TotalNumSgprs: 28
; NumVgprs: 20
; ScratchSize: 0
; MemoryBound: 0
; FloatMode: 240
; IeeeMode: 1
; LDSByteSize: 0 bytes/workgroup (compile time only)
; SGPRBlocks: 0
; VGPRBlocks: 1
; NumSGPRsForWavesPerEU: 28
; NumVGPRsForWavesPerEU: 20
; NamedBarCnt: 0
; Occupancy: 16
; WaveLimiterHint : 0
; COMPUTE_PGM_RSRC2:SCRATCH_EN: 0
; COMPUTE_PGM_RSRC2:USER_SGPR: 2
; COMPUTE_PGM_RSRC2:TRAP_HANDLER: 0
; COMPUTE_PGM_RSRC2:TGID_X_EN: 1
; COMPUTE_PGM_RSRC2:TGID_Y_EN: 1
; COMPUTE_PGM_RSRC2:TGID_Z_EN: 1
; COMPUTE_PGM_RSRC2:TIDIG_COMP_CNT: 0
	.section	.text._ZN9rocsolver6v33100L17larf_right_kernelILi1024E19rocblas_complex_numIdEiPS3_EEvT1_S5_T2_lS5_lPKT0_lS6_lS5_l,"axG",@progbits,_ZN9rocsolver6v33100L17larf_right_kernelILi1024E19rocblas_complex_numIdEiPS3_EEvT1_S5_T2_lS5_lPKT0_lS6_lS5_l,comdat
	.globl	_ZN9rocsolver6v33100L17larf_right_kernelILi1024E19rocblas_complex_numIdEiPS3_EEvT1_S5_T2_lS5_lPKT0_lS6_lS5_l ; -- Begin function _ZN9rocsolver6v33100L17larf_right_kernelILi1024E19rocblas_complex_numIdEiPS3_EEvT1_S5_T2_lS5_lPKT0_lS6_lS5_l
	.p2align	8
	.type	_ZN9rocsolver6v33100L17larf_right_kernelILi1024E19rocblas_complex_numIdEiPS3_EEvT1_S5_T2_lS5_lPKT0_lS6_lS5_l,@function
_ZN9rocsolver6v33100L17larf_right_kernelILi1024E19rocblas_complex_numIdEiPS3_EEvT1_S5_T2_lS5_lPKT0_lS6_lS5_l: ; @_ZN9rocsolver6v33100L17larf_right_kernelILi1024E19rocblas_complex_numIdEiPS3_EEvT1_S5_T2_lS5_lPKT0_lS6_lS5_l
; %bb.0:
	s_clause 0x3
	s_load_b32 s15, s[0:1], 0x4
	s_load_b256 s[4:11], s[0:1], 0x20
	s_load_b96 s[12:14], s[0:1], 0x40
	s_load_b64 s[2:3], s[0:1], 0x50
	s_bfe_u32 s16, ttmp6, 0x40010
	s_and_b32 s18, ttmp7, 0xffff
	s_add_co_i32 s16, s16, 1
	s_bfe_u32 s20, ttmp6, 0x40014
	s_mul_i32 s16, s18, s16
	s_bfe_u32 s19, ttmp6, 0x40004
	s_lshr_b32 s21, ttmp7, 16
	s_add_co_i32 s20, s20, 1
	s_add_co_i32 s19, s19, s16
	s_mul_i32 s16, s21, s20
	s_bfe_u32 s20, ttmp6, 0x40008
	s_getreg_b32 s22, hwreg(HW_REG_IB_STS2, 6, 4)
	s_add_co_i32 s20, s20, s16
	v_mov_b64_e32 v[2:3], 0
	v_mov_b64_e32 v[4:5], 0
	s_cmp_eq_u32 s22, 0
	s_wait_kmcnt 0x0
	v_cmp_gt_i32_e32 vcc_lo, s15, v0
	v_lshlrev_b32_e32 v8, 4, v0
	s_mov_b32 s17, 0
	s_cselect_b32 s16, s21, s20
	s_cselect_b32 s18, s18, s19
	s_mul_u64 s[2:3], s[2:3], s[16:17]
	s_and_saveexec_b32 s19, vcc_lo
	s_cbranch_execz .LBB11_6
; %bb.1:
	s_clause 0x1
	s_load_b32 s24, s[0:1], 0x18
	s_load_b128 s[20:23], s[0:1], 0x8
	v_add3_u32 v9, v8, 0, 0x200
	v_mov_b32_e32 v1, 0
	s_wait_xcnt 0x0
	s_sub_co_i32 s1, 1, s15
	s_mul_u64 s[4:5], s[4:5], s[16:17]
	v_dual_mov_b32 v5, v0 :: v_dual_mov_b32 v4, v9
	s_wait_kmcnt 0x0
	s_ashr_i32 s25, s24, 31
	s_mul_i32 s1, s24, s1
	v_mul_u64_e32 v[2:3], s[24:25], v[0:1]
	v_cmp_lt_i64_e64 s0, s[24:25], 1
	s_and_b32 s0, s0, exec_lo
	s_cselect_b32 s0, s1, 0
	s_lshl_b64 s[22:23], s[22:23], 4
	s_ashr_i32 s1, s0, 31
	s_lshl_b64 s[4:5], s[4:5], 4
	s_lshl_b64 s[0:1], s[0:1], 4
	s_delay_alu instid0(SALU_CYCLE_1) | instskip(NEXT) | instid1(SALU_CYCLE_1)
	s_add_nc_u64 s[0:1], s[20:21], s[0:1]
	s_add_nc_u64 s[0:1], s[0:1], s[22:23]
	s_delay_alu instid0(SALU_CYCLE_1)
	s_add_nc_u64 s[0:1], s[0:1], s[4:5]
	s_lshl_b64 s[4:5], s[24:25], 14
	v_lshl_add_u64 v[2:3], v[2:3], 4, s[0:1]
	s_mov_b32 s1, s17
.LBB11_2:                               ; =>This Inner Loop Header: Depth=1
	global_load_b128 v[10:13], v[2:3], off
	v_add_nc_u32_e32 v5, 0x400, v5
	s_wait_xcnt 0x0
	v_add_nc_u64_e32 v[2:3], s[4:5], v[2:3]
	s_delay_alu instid0(VALU_DEP_2)
	v_cmp_le_i32_e64 s0, s15, v5
	s_or_b32 s1, s0, s1
	s_wait_loadcnt 0x0
	ds_store_2addr_b64 v4, v[10:11], v[12:13] offset1:1
	v_add_nc_u32_e32 v4, 0x4000, v4
	s_and_not1_b32 exec_lo, exec_lo, s1
	s_cbranch_execnz .LBB11_2
; %bb.3:
	s_or_b32 exec_lo, exec_lo, s1
	s_ashr_i32 s5, s14, 31
	s_mov_b32 s4, s14
	s_lshl_b32 s0, s18, 4
	v_mul_u64_e32 v[2:3], s[4:5], v[0:1]
	s_mov_b32 s1, 0
	s_lshl_b64 s[20:21], s[12:13], 4
	s_add_nc_u64 s[22:23], s[10:11], s[0:1]
	s_lshl_b64 s[24:25], s[2:3], 4
	s_add_nc_u64 s[20:21], s[22:23], s[20:21]
	v_mov_b32_e32 v1, v0
	s_add_nc_u64 s[20:21], s[20:21], s[24:25]
	s_lshl_b64 s[4:5], s[4:5], 14
	s_delay_alu instid0(VALU_DEP_2) | instskip(SKIP_1) | instid1(VALU_DEP_2)
	v_lshl_add_u64 v[4:5], v[2:3], 4, s[20:21]
	v_mov_b64_e32 v[2:3], 0
	v_add_nc_u64_e32 v[6:7], 8, v[4:5]
	v_mov_b64_e32 v[4:5], 0
.LBB11_4:                               ; =>This Inner Loop Header: Depth=1
	global_load_b128 v[10:13], v[6:7], off offset:-8
	ds_load_2addr_b64 v[14:17], v9 offset1:1
	v_add_nc_u32_e32 v1, 0x400, v1
	s_wait_xcnt 0x0
	v_add_nc_u64_e32 v[6:7], s[4:5], v[6:7]
	v_add_nc_u32_e32 v9, 0x4000, v9
	s_delay_alu instid0(VALU_DEP_3) | instskip(SKIP_4) | instid1(VALU_DEP_2)
	v_cmp_le_i32_e64 s0, s15, v1
	s_or_b32 s1, s0, s1
	s_wait_loadcnt_dscnt 0x0
	v_mul_f64_e32 v[18:19], v[16:17], v[12:13]
	v_mul_f64_e32 v[12:13], v[14:15], v[12:13]
	v_fma_f64 v[14:15], v[14:15], v[10:11], -v[18:19]
	s_delay_alu instid0(VALU_DEP_2) | instskip(NEXT) | instid1(VALU_DEP_2)
	v_fmac_f64_e32 v[12:13], v[16:17], v[10:11]
	v_add_f64_e32 v[4:5], v[4:5], v[14:15]
	s_delay_alu instid0(VALU_DEP_2)
	v_add_f64_e32 v[2:3], v[2:3], v[12:13]
	s_and_not1_b32 exec_lo, exec_lo, s1
	s_cbranch_execnz .LBB11_4
; %bb.5:
	s_or_b32 exec_lo, exec_lo, s1
.LBB11_6:
	s_delay_alu instid0(SALU_CYCLE_1) | instskip(SKIP_2) | instid1(VALU_DEP_1)
	s_or_b32 exec_lo, exec_lo, s19
	v_mbcnt_lo_u32_b32 v1, -1, 0
	s_mov_b32 s1, exec_lo
	v_cmp_ne_u32_e64 s0, 31, v1
	s_delay_alu instid0(VALU_DEP_1) | instskip(SKIP_1) | instid1(VALU_DEP_2)
	v_add_co_ci_u32_e64 v6, null, 0, v1, s0
	v_cmp_gt_u32_e64 s0, 30, v1
	v_lshlrev_b32_e32 v9, 2, v6
	ds_bpermute_b32 v6, v9, v4
	ds_bpermute_b32 v7, v9, v5
	;; [unrolled: 1-line block ×4, first 2 shown]
	s_wait_dscnt 0x2
	v_add_f64_e32 v[4:5], v[4:5], v[6:7]
	v_cndmask_b32_e64 v6, 0, 2, s0
	s_wait_dscnt 0x0
	v_add_f64_e32 v[2:3], v[2:3], v[10:11]
	v_cmp_gt_u32_e64 s0, 28, v1
	s_delay_alu instid0(VALU_DEP_3)
	v_add_lshl_u32 v9, v6, v1, 2
	ds_bpermute_b32 v6, v9, v4
	ds_bpermute_b32 v7, v9, v5
	;; [unrolled: 1-line block ×4, first 2 shown]
	s_wait_dscnt 0x2
	v_add_f64_e32 v[4:5], v[4:5], v[6:7]
	v_cndmask_b32_e64 v6, 0, 4, s0
	s_wait_dscnt 0x0
	v_add_f64_e32 v[2:3], v[2:3], v[10:11]
	v_cmp_gt_u32_e64 s0, 24, v1
	s_delay_alu instid0(VALU_DEP_3)
	v_add_lshl_u32 v9, v6, v1, 2
	ds_bpermute_b32 v6, v9, v4
	ds_bpermute_b32 v7, v9, v5
	ds_bpermute_b32 v10, v9, v2
	ds_bpermute_b32 v11, v9, v3
	s_wait_dscnt 0x2
	v_add_f64_e32 v[4:5], v[4:5], v[6:7]
	v_cndmask_b32_e64 v6, 0, 8, s0
	s_wait_dscnt 0x0
	v_add_f64_e32 v[2:3], v[2:3], v[10:11]
	s_delay_alu instid0(VALU_DEP_2)
	v_add_lshl_u32 v9, v6, v1, 2
	v_lshl_or_b32 v1, v1, 2, 64
	ds_bpermute_b32 v6, v9, v4
	ds_bpermute_b32 v7, v9, v5
	;; [unrolled: 1-line block ×4, first 2 shown]
	s_wait_dscnt 0x2
	v_add_f64_e32 v[4:5], v[4:5], v[6:7]
	s_wait_dscnt 0x0
	v_add_f64_e32 v[6:7], v[2:3], v[10:11]
	ds_bpermute_b32 v2, v1, v4
	ds_bpermute_b32 v3, v1, v5
	;; [unrolled: 1-line block ×4, first 2 shown]
	s_wait_dscnt 0x2
	v_dual_add_f64 v[2:3], v[4:5], v[2:3] :: v_dual_bitop2_b32 v1, 31, v0 bitop3:0x40
	s_wait_dscnt 0x0
	v_add_f64_e32 v[4:5], v[6:7], v[10:11]
	s_delay_alu instid0(VALU_DEP_2)
	v_cmpx_eq_u32_e32 0, v1
; %bb.7:
	v_lshrrev_b32_e32 v1, 1, v0
	s_delay_alu instid0(VALU_DEP_1)
	v_add_nc_u32_e32 v1, 0, v1
	ds_store_2addr_b64 v1, v[2:3], v[4:5] offset1:1
; %bb.8:
	s_or_b32 exec_lo, exec_lo, s1
	s_delay_alu instid0(SALU_CYCLE_1)
	s_mov_b32 s1, exec_lo
	s_wait_dscnt 0x0
	s_barrier_signal -1
	s_barrier_wait -1
	v_cmpx_eq_u32_e32 0, v0
	s_cbranch_execz .LBB11_10
; %bb.9:
	v_mov_b32_e32 v1, 0
	ds_load_2addr_b64 v[10:13], v1 offset0:2 offset1:3
	ds_load_2addr_b64 v[14:17], v1 offset0:4 offset1:5
	s_wait_dscnt 0x1
	v_add_f64_e32 v[2:3], v[2:3], v[10:11]
	v_add_f64_e32 v[4:5], v[4:5], v[12:13]
	s_wait_dscnt 0x0
	s_delay_alu instid0(VALU_DEP_2) | instskip(NEXT) | instid1(VALU_DEP_2)
	v_add_f64_e32 v[6:7], v[2:3], v[14:15]
	v_add_f64_e32 v[14:15], v[4:5], v[16:17]
	ds_load_2addr_b64 v[2:5], v1 offset0:6 offset1:7
	ds_load_2addr_b64 v[10:13], v1 offset0:8 offset1:9
	s_wait_dscnt 0x1
	v_add_f64_e32 v[2:3], v[6:7], v[2:3]
	v_add_f64_e32 v[4:5], v[14:15], v[4:5]
	s_wait_dscnt 0x0
	s_delay_alu instid0(VALU_DEP_2) | instskip(NEXT) | instid1(VALU_DEP_2)
	v_add_f64_e32 v[6:7], v[2:3], v[10:11]
	v_add_f64_e32 v[14:15], v[4:5], v[12:13]
	ds_load_2addr_b64 v[2:5], v1 offset0:10 offset1:11
	ds_load_2addr_b64 v[10:13], v1 offset0:12 offset1:13
	s_wait_dscnt 0x1
	v_add_f64_e32 v[2:3], v[6:7], v[2:3]
	v_add_f64_e32 v[4:5], v[14:15], v[4:5]
	s_wait_dscnt 0x0
	s_delay_alu instid0(VALU_DEP_2) | instskip(NEXT) | instid1(VALU_DEP_2)
	v_add_f64_e32 v[6:7], v[2:3], v[10:11]
	v_add_f64_e32 v[14:15], v[4:5], v[12:13]
	ds_load_2addr_b64 v[2:5], v1 offset0:14 offset1:15
	ds_load_2addr_b64 v[10:13], v1 offset0:16 offset1:17
	s_wait_dscnt 0x1
	v_add_f64_e32 v[2:3], v[6:7], v[2:3]
	v_add_f64_e32 v[4:5], v[14:15], v[4:5]
	s_wait_dscnt 0x0
	s_delay_alu instid0(VALU_DEP_2) | instskip(NEXT) | instid1(VALU_DEP_2)
	v_add_f64_e32 v[6:7], v[2:3], v[10:11]
	v_add_f64_e32 v[14:15], v[4:5], v[12:13]
	ds_load_2addr_b64 v[2:5], v1 offset0:18 offset1:19
	ds_load_2addr_b64 v[10:13], v1 offset0:20 offset1:21
	s_wait_dscnt 0x1
	v_add_f64_e32 v[2:3], v[6:7], v[2:3]
	v_add_f64_e32 v[4:5], v[14:15], v[4:5]
	s_wait_dscnt 0x0
	s_delay_alu instid0(VALU_DEP_2) | instskip(NEXT) | instid1(VALU_DEP_2)
	v_add_f64_e32 v[6:7], v[2:3], v[10:11]
	v_add_f64_e32 v[14:15], v[4:5], v[12:13]
	ds_load_2addr_b64 v[2:5], v1 offset0:22 offset1:23
	ds_load_2addr_b64 v[10:13], v1 offset0:24 offset1:25
	s_wait_dscnt 0x1
	v_add_f64_e32 v[2:3], v[6:7], v[2:3]
	v_add_f64_e32 v[4:5], v[14:15], v[4:5]
	s_wait_dscnt 0x0
	s_delay_alu instid0(VALU_DEP_2) | instskip(NEXT) | instid1(VALU_DEP_2)
	v_add_f64_e32 v[6:7], v[2:3], v[10:11]
	v_add_f64_e32 v[14:15], v[4:5], v[12:13]
	ds_load_2addr_b64 v[2:5], v1 offset0:26 offset1:27
	ds_load_2addr_b64 v[10:13], v1 offset0:28 offset1:29
	s_wait_dscnt 0x1
	v_add_f64_e32 v[2:3], v[6:7], v[2:3]
	v_add_f64_e32 v[4:5], v[14:15], v[4:5]
	s_wait_dscnt 0x0
	s_delay_alu instid0(VALU_DEP_2) | instskip(NEXT) | instid1(VALU_DEP_2)
	v_add_f64_e32 v[6:7], v[2:3], v[10:11]
	v_add_f64_e32 v[14:15], v[4:5], v[12:13]
	ds_load_2addr_b64 v[2:5], v1 offset0:30 offset1:31
	ds_load_2addr_b64 v[10:13], v1 offset0:32 offset1:33
	s_wait_dscnt 0x1
	v_add_f64_e32 v[2:3], v[6:7], v[2:3]
	v_add_f64_e32 v[4:5], v[14:15], v[4:5]
	s_wait_dscnt 0x0
	s_delay_alu instid0(VALU_DEP_2) | instskip(NEXT) | instid1(VALU_DEP_2)
	v_add_f64_e32 v[6:7], v[2:3], v[10:11]
	v_add_f64_e32 v[14:15], v[4:5], v[12:13]
	ds_load_2addr_b64 v[2:5], v1 offset0:34 offset1:35
	ds_load_2addr_b64 v[10:13], v1 offset0:36 offset1:37
	s_wait_dscnt 0x1
	v_add_f64_e32 v[2:3], v[6:7], v[2:3]
	v_add_f64_e32 v[4:5], v[14:15], v[4:5]
	s_wait_dscnt 0x0
	s_delay_alu instid0(VALU_DEP_2) | instskip(NEXT) | instid1(VALU_DEP_2)
	v_add_f64_e32 v[6:7], v[2:3], v[10:11]
	v_add_f64_e32 v[14:15], v[4:5], v[12:13]
	ds_load_2addr_b64 v[2:5], v1 offset0:38 offset1:39
	ds_load_2addr_b64 v[10:13], v1 offset0:40 offset1:41
	s_wait_dscnt 0x1
	v_add_f64_e32 v[2:3], v[6:7], v[2:3]
	v_add_f64_e32 v[4:5], v[14:15], v[4:5]
	s_wait_dscnt 0x0
	s_delay_alu instid0(VALU_DEP_2) | instskip(NEXT) | instid1(VALU_DEP_2)
	v_add_f64_e32 v[6:7], v[2:3], v[10:11]
	v_add_f64_e32 v[14:15], v[4:5], v[12:13]
	ds_load_2addr_b64 v[2:5], v1 offset0:42 offset1:43
	ds_load_2addr_b64 v[10:13], v1 offset0:44 offset1:45
	s_wait_dscnt 0x1
	v_add_f64_e32 v[2:3], v[6:7], v[2:3]
	v_add_f64_e32 v[4:5], v[14:15], v[4:5]
	s_wait_dscnt 0x0
	s_delay_alu instid0(VALU_DEP_2) | instskip(NEXT) | instid1(VALU_DEP_2)
	v_add_f64_e32 v[6:7], v[2:3], v[10:11]
	v_add_f64_e32 v[14:15], v[4:5], v[12:13]
	ds_load_2addr_b64 v[2:5], v1 offset0:46 offset1:47
	ds_load_2addr_b64 v[10:13], v1 offset0:48 offset1:49
	s_wait_dscnt 0x1
	v_add_f64_e32 v[2:3], v[6:7], v[2:3]
	v_add_f64_e32 v[4:5], v[14:15], v[4:5]
	s_wait_dscnt 0x0
	s_delay_alu instid0(VALU_DEP_2) | instskip(NEXT) | instid1(VALU_DEP_2)
	v_add_f64_e32 v[6:7], v[2:3], v[10:11]
	v_add_f64_e32 v[14:15], v[4:5], v[12:13]
	ds_load_2addr_b64 v[2:5], v1 offset0:50 offset1:51
	ds_load_2addr_b64 v[10:13], v1 offset0:52 offset1:53
	s_wait_dscnt 0x1
	v_add_f64_e32 v[2:3], v[6:7], v[2:3]
	v_add_f64_e32 v[4:5], v[14:15], v[4:5]
	s_wait_dscnt 0x0
	s_delay_alu instid0(VALU_DEP_2) | instskip(NEXT) | instid1(VALU_DEP_2)
	v_add_f64_e32 v[6:7], v[2:3], v[10:11]
	v_add_f64_e32 v[14:15], v[4:5], v[12:13]
	ds_load_2addr_b64 v[2:5], v1 offset0:54 offset1:55
	ds_load_2addr_b64 v[10:13], v1 offset0:56 offset1:57
	s_wait_dscnt 0x1
	v_add_f64_e32 v[2:3], v[6:7], v[2:3]
	v_add_f64_e32 v[4:5], v[14:15], v[4:5]
	s_wait_dscnt 0x0
	s_delay_alu instid0(VALU_DEP_2) | instskip(NEXT) | instid1(VALU_DEP_2)
	v_add_f64_e32 v[6:7], v[2:3], v[10:11]
	v_add_f64_e32 v[14:15], v[4:5], v[12:13]
	ds_load_2addr_b64 v[2:5], v1 offset0:58 offset1:59
	ds_load_2addr_b64 v[10:13], v1 offset0:60 offset1:61
	s_wait_dscnt 0x1
	v_add_f64_e32 v[2:3], v[6:7], v[2:3]
	v_add_f64_e32 v[4:5], v[14:15], v[4:5]
	s_wait_dscnt 0x0
	s_delay_alu instid0(VALU_DEP_2) | instskip(NEXT) | instid1(VALU_DEP_2)
	v_add_f64_e32 v[6:7], v[2:3], v[10:11]
	v_add_f64_e32 v[10:11], v[4:5], v[12:13]
	ds_load_2addr_b64 v[2:5], v1 offset0:62 offset1:63
	s_wait_dscnt 0x0
	v_add_f64_e32 v[2:3], v[6:7], v[2:3]
	v_add_f64_e32 v[4:5], v[10:11], v[4:5]
	ds_store_2addr_b64 v1, v[2:3], v[4:5] offset1:1
.LBB11_10:
	s_or_b32 exec_lo, exec_lo, s1
	s_wait_dscnt 0x0
	s_barrier_signal -1
	s_barrier_wait -1
	s_and_saveexec_b32 s0, vcc_lo
	s_cbranch_execz .LBB11_13
; %bb.11:
	s_mul_u64 s[0:1], s[8:9], s[16:17]
	s_lshl_b64 s[2:3], s[2:3], 4
	s_lshl_b64 s[0:1], s[0:1], 4
	s_delay_alu instid0(SALU_CYCLE_1)
	s_add_nc_u64 s[0:1], s[6:7], s[0:1]
	s_load_b128 s[4:7], s[0:1], 0x0
	v_mov_b32_e32 v1, 0
	s_wait_xcnt 0x0
	s_mov_b32 s1, 0
	s_lshl_b32 s0, s18, 4
	s_delay_alu instid0(SALU_CYCLE_1)
	s_add_nc_u64 s[8:9], s[10:11], s[0:1]
	ds_load_2addr_b64 v[4:7], v1 offset1:1
	s_wait_dscnt 0x0
	s_wait_kmcnt 0x0
	v_mul_f64_e32 v[2:3], s[4:5], v[4:5]
	v_mul_f64_e32 v[10:11], s[4:5], v[6:7]
	s_ashr_i32 s5, s14, 31
	s_mov_b32 s4, s14
	s_delay_alu instid0(SALU_CYCLE_1) | instskip(SKIP_1) | instid1(VALU_DEP_4)
	v_mul_u64_e32 v[12:13], s[4:5], v[0:1]
	v_add3_u32 v1, v8, 0, 0x200
	v_fma_f64 v[2:3], s[6:7], v[6:7], -v[2:3]
	s_delay_alu instid0(VALU_DEP_4) | instskip(SKIP_1) | instid1(SALU_CYCLE_1)
	v_fma_f64 v[4:5], v[4:5], -s[6:7], -v[10:11]
	s_lshl_b64 s[6:7], s[12:13], 4
	s_add_nc_u64 s[6:7], s[8:9], s[6:7]
	s_delay_alu instid0(SALU_CYCLE_1)
	s_add_nc_u64 s[2:3], s[6:7], s[2:3]
	s_delay_alu instid0(VALU_DEP_4) | instid1(SALU_CYCLE_1)
	v_lshl_add_u64 v[6:7], v[12:13], 4, s[2:3]
	s_lshl_b64 s[2:3], s[4:5], 14
	s_delay_alu instid0(VALU_DEP_1)
	v_add_nc_u64_e32 v[6:7], 8, v[6:7]
.LBB11_12:                              ; =>This Inner Loop Header: Depth=1
	global_load_b128 v[8:11], v[6:7], off offset:-8
	ds_load_2addr_b64 v[12:15], v1 offset1:1
	v_add_nc_u32_e32 v0, 0x400, v0
	v_add_nc_u32_e32 v1, 0x4000, v1
	s_delay_alu instid0(VALU_DEP_2) | instskip(SKIP_4) | instid1(VALU_DEP_2)
	v_cmp_le_i32_e32 vcc_lo, s15, v0
	s_or_b32 s1, vcc_lo, s1
	s_wait_dscnt 0x0
	v_mul_f64_e32 v[16:17], v[4:5], v[14:15]
	v_mul_f64_e32 v[14:15], v[2:3], v[14:15]
	v_fmac_f64_e32 v[16:17], v[2:3], v[12:13]
	s_delay_alu instid0(VALU_DEP_2) | instskip(SKIP_1) | instid1(VALU_DEP_2)
	v_fma_f64 v[12:13], v[4:5], v[12:13], -v[14:15]
	s_wait_loadcnt 0x0
	v_add_f64_e32 v[8:9], v[8:9], v[16:17]
	s_delay_alu instid0(VALU_DEP_2)
	v_add_f64_e32 v[10:11], v[12:13], v[10:11]
	global_store_b128 v[6:7], v[8:11], off offset:-8
	s_wait_xcnt 0x0
	v_add_nc_u64_e32 v[6:7], s[2:3], v[6:7]
	s_and_not1_b32 exec_lo, exec_lo, s1
	s_cbranch_execnz .LBB11_12
.LBB11_13:
	s_endpgm
	.section	.rodata,"a",@progbits
	.p2align	6, 0x0
	.amdhsa_kernel _ZN9rocsolver6v33100L17larf_right_kernelILi1024E19rocblas_complex_numIdEiPS3_EEvT1_S5_T2_lS5_lPKT0_lS6_lS5_l
		.amdhsa_group_segment_fixed_size 0
		.amdhsa_private_segment_fixed_size 0
		.amdhsa_kernarg_size 88
		.amdhsa_user_sgpr_count 2
		.amdhsa_user_sgpr_dispatch_ptr 0
		.amdhsa_user_sgpr_queue_ptr 0
		.amdhsa_user_sgpr_kernarg_segment_ptr 1
		.amdhsa_user_sgpr_dispatch_id 0
		.amdhsa_user_sgpr_kernarg_preload_length 0
		.amdhsa_user_sgpr_kernarg_preload_offset 0
		.amdhsa_user_sgpr_private_segment_size 0
		.amdhsa_wavefront_size32 1
		.amdhsa_uses_dynamic_stack 0
		.amdhsa_enable_private_segment 0
		.amdhsa_system_sgpr_workgroup_id_x 1
		.amdhsa_system_sgpr_workgroup_id_y 1
		.amdhsa_system_sgpr_workgroup_id_z 1
		.amdhsa_system_sgpr_workgroup_info 0
		.amdhsa_system_vgpr_workitem_id 0
		.amdhsa_next_free_vgpr 20
		.amdhsa_next_free_sgpr 26
		.amdhsa_named_barrier_count 0
		.amdhsa_reserve_vcc 1
		.amdhsa_float_round_mode_32 0
		.amdhsa_float_round_mode_16_64 0
		.amdhsa_float_denorm_mode_32 3
		.amdhsa_float_denorm_mode_16_64 3
		.amdhsa_fp16_overflow 0
		.amdhsa_memory_ordered 1
		.amdhsa_forward_progress 1
		.amdhsa_inst_pref_size 16
		.amdhsa_round_robin_scheduling 0
		.amdhsa_exception_fp_ieee_invalid_op 0
		.amdhsa_exception_fp_denorm_src 0
		.amdhsa_exception_fp_ieee_div_zero 0
		.amdhsa_exception_fp_ieee_overflow 0
		.amdhsa_exception_fp_ieee_underflow 0
		.amdhsa_exception_fp_ieee_inexact 0
		.amdhsa_exception_int_div_zero 0
	.end_amdhsa_kernel
	.section	.text._ZN9rocsolver6v33100L17larf_right_kernelILi1024E19rocblas_complex_numIdEiPS3_EEvT1_S5_T2_lS5_lPKT0_lS6_lS5_l,"axG",@progbits,_ZN9rocsolver6v33100L17larf_right_kernelILi1024E19rocblas_complex_numIdEiPS3_EEvT1_S5_T2_lS5_lPKT0_lS6_lS5_l,comdat
.Lfunc_end11:
	.size	_ZN9rocsolver6v33100L17larf_right_kernelILi1024E19rocblas_complex_numIdEiPS3_EEvT1_S5_T2_lS5_lPKT0_lS6_lS5_l, .Lfunc_end11-_ZN9rocsolver6v33100L17larf_right_kernelILi1024E19rocblas_complex_numIdEiPS3_EEvT1_S5_T2_lS5_lPKT0_lS6_lS5_l
                                        ; -- End function
	.set _ZN9rocsolver6v33100L17larf_right_kernelILi1024E19rocblas_complex_numIdEiPS3_EEvT1_S5_T2_lS5_lPKT0_lS6_lS5_l.num_vgpr, 20
	.set _ZN9rocsolver6v33100L17larf_right_kernelILi1024E19rocblas_complex_numIdEiPS3_EEvT1_S5_T2_lS5_lPKT0_lS6_lS5_l.num_agpr, 0
	.set _ZN9rocsolver6v33100L17larf_right_kernelILi1024E19rocblas_complex_numIdEiPS3_EEvT1_S5_T2_lS5_lPKT0_lS6_lS5_l.numbered_sgpr, 26
	.set _ZN9rocsolver6v33100L17larf_right_kernelILi1024E19rocblas_complex_numIdEiPS3_EEvT1_S5_T2_lS5_lPKT0_lS6_lS5_l.num_named_barrier, 0
	.set _ZN9rocsolver6v33100L17larf_right_kernelILi1024E19rocblas_complex_numIdEiPS3_EEvT1_S5_T2_lS5_lPKT0_lS6_lS5_l.private_seg_size, 0
	.set _ZN9rocsolver6v33100L17larf_right_kernelILi1024E19rocblas_complex_numIdEiPS3_EEvT1_S5_T2_lS5_lPKT0_lS6_lS5_l.uses_vcc, 1
	.set _ZN9rocsolver6v33100L17larf_right_kernelILi1024E19rocblas_complex_numIdEiPS3_EEvT1_S5_T2_lS5_lPKT0_lS6_lS5_l.uses_flat_scratch, 0
	.set _ZN9rocsolver6v33100L17larf_right_kernelILi1024E19rocblas_complex_numIdEiPS3_EEvT1_S5_T2_lS5_lPKT0_lS6_lS5_l.has_dyn_sized_stack, 0
	.set _ZN9rocsolver6v33100L17larf_right_kernelILi1024E19rocblas_complex_numIdEiPS3_EEvT1_S5_T2_lS5_lPKT0_lS6_lS5_l.has_recursion, 0
	.set _ZN9rocsolver6v33100L17larf_right_kernelILi1024E19rocblas_complex_numIdEiPS3_EEvT1_S5_T2_lS5_lPKT0_lS6_lS5_l.has_indirect_call, 0
	.section	.AMDGPU.csdata,"",@progbits
; Kernel info:
; codeLenInByte = 2004
; TotalNumSgprs: 28
; NumVgprs: 20
; ScratchSize: 0
; MemoryBound: 0
; FloatMode: 240
; IeeeMode: 1
; LDSByteSize: 0 bytes/workgroup (compile time only)
; SGPRBlocks: 0
; VGPRBlocks: 1
; NumSGPRsForWavesPerEU: 28
; NumVGPRsForWavesPerEU: 20
; NamedBarCnt: 0
; Occupancy: 16
; WaveLimiterHint : 0
; COMPUTE_PGM_RSRC2:SCRATCH_EN: 0
; COMPUTE_PGM_RSRC2:USER_SGPR: 2
; COMPUTE_PGM_RSRC2:TRAP_HANDLER: 0
; COMPUTE_PGM_RSRC2:TGID_X_EN: 1
; COMPUTE_PGM_RSRC2:TGID_Y_EN: 1
; COMPUTE_PGM_RSRC2:TGID_Z_EN: 1
; COMPUTE_PGM_RSRC2:TIDIG_COMP_CNT: 0
	.section	.text._ZN9rocsolver6v33100L16larf_left_kernelILi1024EflPfEEvT1_S3_T2_lS3_lPKT0_lS4_lS3_l,"axG",@progbits,_ZN9rocsolver6v33100L16larf_left_kernelILi1024EflPfEEvT1_S3_T2_lS3_lPKT0_lS4_lS3_l,comdat
	.globl	_ZN9rocsolver6v33100L16larf_left_kernelILi1024EflPfEEvT1_S3_T2_lS3_lPKT0_lS4_lS3_l ; -- Begin function _ZN9rocsolver6v33100L16larf_left_kernelILi1024EflPfEEvT1_S3_T2_lS3_lPKT0_lS4_lS3_l
	.p2align	8
	.type	_ZN9rocsolver6v33100L16larf_left_kernelILi1024EflPfEEvT1_S3_T2_lS3_lPKT0_lS4_lS3_l,@function
_ZN9rocsolver6v33100L16larf_left_kernelILi1024EflPfEEvT1_S3_T2_lS3_lPKT0_lS4_lS3_l: ; @_ZN9rocsolver6v33100L16larf_left_kernelILi1024EflPfEEvT1_S3_T2_lS3_lPKT0_lS4_lS3_l
; %bb.0:
	s_clause 0x1
	s_load_b512 s[4:19], s[0:1], 0x10
	s_load_b64 s[2:3], s[0:1], 0x0
	s_mov_b64 s[26:27], 0
	s_wait_kmcnt 0x0
	v_cmp_gt_i64_e64 s20, s[8:9], 0
	s_and_b32 vcc_lo, exec_lo, s20
	s_cbranch_vccnz .LBB12_2
; %bb.1:
	s_sub_nc_u64 s[20:21], 1, s[2:3]
	s_delay_alu instid0(SALU_CYCLE_1)
	s_mul_u64 s[26:27], s[8:9], s[20:21]
.LBB12_2:
	s_load_b128 s[28:31], s[0:1], 0x50
	s_bfe_u32 s20, ttmp6, 0x40010
	s_and_b32 s21, ttmp7, 0xffff
	s_add_co_i32 s20, s20, 1
	s_wait_xcnt 0x0
	s_bfe_u32 s1, ttmp6, 0x40014
	v_mov_b32_e32 v1, 0
	s_mul_i32 s0, s21, s20
	s_lshr_b32 s20, ttmp7, 16
	s_add_co_i32 s1, s1, 1
	s_bfe_u32 s22, ttmp6, 0x40004
	s_mul_i32 s1, s20, s1
	s_bfe_u32 s23, ttmp6, 0x40008
	s_add_co_i32 s22, s22, s0
	s_getreg_b32 s0, hwreg(HW_REG_IB_STS2, 6, 4)
	s_add_co_i32 s23, s23, s1
	v_cmp_gt_i64_e32 vcc_lo, s[2:3], v[0:1]
	s_cmp_eq_u32 s0, 0
	s_mov_b32 s25, 0
	v_not_b32_e32 v6, v0
	v_mov_b32_e32 v3, v1
	s_cselect_b32 s24, s20, s23
	s_cselect_b32 s0, s21, s22
	s_mov_b32 s1, s25
	s_wait_kmcnt 0x0
	s_mul_u64 s[20:21], s[30:31], s[24:25]
	s_mul_u64 s[22:23], s[28:29], s[0:1]
	s_and_saveexec_b32 s1, vcc_lo
	s_cbranch_execz .LBB12_13
; %bb.3:
	v_mov_b32_e32 v7, -1
	v_mov_b64_e32 v[2:3], v[0:1]
	s_mul_u64 s[10:11], s[10:11], s[24:25]
	s_mov_b32 s29, -1
	s_mov_b32 s33, exec_lo
	v_add_nc_u64_e32 v[4:5], s[2:3], v[6:7]
	s_delay_alu instid0(VALU_DEP_1)
	v_cmpx_lt_u64_e32 0x3ff, v[4:5]
	s_cbranch_execz .LBB12_7
; %bb.4:
	v_lshrrev_b64 v[2:3], 10, v[4:5]
	s_lshl_b64 s[28:29], s[10:11], 2
	s_lshl_b64 s[30:31], s[6:7], 2
	s_add_nc_u64 s[28:29], s[4:5], s[28:29]
	s_lshl_b64 s[34:35], s[26:27], 2
	s_add_nc_u64 s[28:29], s[28:29], s[30:31]
	s_mov_b32 s30, s8
	v_add_nc_u64_e32 v[8:9], 1, v[2:3]
	v_or_b32_e32 v2, 0x400, v0
	v_mov_b32_e32 v3, v1
	s_add_nc_u64 s[28:29], s[28:29], s[34:35]
	s_mov_b32 s31, s9
	s_mov_b32 s34, 0
	s_delay_alu instid0(VALU_DEP_1) | instskip(SKIP_2) | instid1(VALU_DEP_2)
	v_mov_b64_e32 v[4:5], v[2:3]
	v_dual_mov_b32 v11, v9 :: v_dual_bitop2_b32 v10, -2, v8 bitop3:0x40
	v_mov_b64_e32 v[2:3], v[0:1]
	v_mov_b64_e32 v[12:13], v[10:11]
.LBB12_5:                               ; =>This Inner Loop Header: Depth=1
	s_delay_alu instid0(VALU_DEP_2) | instskip(SKIP_1) | instid1(VALU_DEP_3)
	v_mul_u64_e32 v[14:15], s[8:9], v[2:3]
	v_mul_u64_e32 v[16:17], s[30:31], v[4:5]
	v_add_nc_u64_e32 v[12:13], -2, v[12:13]
	s_delay_alu instid0(VALU_DEP_1)
	v_cmp_eq_u64_e64 s0, 0, v[12:13]
	s_or_b32 s34, s0, s34
	v_lshl_add_u64 v[14:15], v[14:15], 2, s[28:29]
	v_lshl_add_u64 v[16:17], v[16:17], 2, s[28:29]
	s_clause 0x1
	global_load_b32 v7, v[14:15], off
	global_load_b32 v18, v[16:17], off
	s_wait_xcnt 0x1
	v_lshl_add_u32 v14, v2, 2, 0
	v_lshl_add_u32 v15, v4, 2, 0
	v_add_nc_u64_e32 v[4:5], 0x800, v[4:5]
	v_add_nc_u64_e32 v[2:3], 0x800, v[2:3]
	s_wait_loadcnt 0x1
	ds_store_b32 v14, v7 offset:128
	s_wait_loadcnt 0x0
	ds_store_b32 v15, v18 offset:128
	s_wait_xcnt 0x0
	s_and_not1_b32 exec_lo, exec_lo, s34
	s_cbranch_execnz .LBB12_5
; %bb.6:
	s_or_b32 exec_lo, exec_lo, s34
	v_lshlrev_b64_e32 v[2:3], 10, v[10:11]
	v_cmp_ne_u64_e64 s0, v[8:9], v[10:11]
	s_delay_alu instid0(VALU_DEP_2)
	v_or_b32_e32 v2, v2, v0
	s_or_not1_b32 s29, s0, exec_lo
.LBB12_7:
	s_or_b32 exec_lo, exec_lo, s33
	s_and_saveexec_b32 s28, s29
	s_cbranch_execz .LBB12_10
; %bb.8:
	v_mul_u64_e32 v[4:5], s[8:9], v[2:3]
	s_lshl_b64 s[6:7], s[6:7], 2
	s_lshl_b64 s[26:27], s[26:27], 2
	s_add_nc_u64 s[4:5], s[4:5], s[6:7]
	v_lshlrev_b32_e32 v7, 2, v2
	s_lshl_b64 s[10:11], s[10:11], 2
	s_add_nc_u64 s[4:5], s[4:5], s[26:27]
	s_mov_b32 s6, 0
	s_add_nc_u64 s[4:5], s[4:5], s[10:11]
	v_add3_u32 v7, v7, 0, 0x80
	s_delay_alu instid0(VALU_DEP_3)
	v_lshl_add_u64 v[4:5], v[4:5], 2, s[4:5]
	s_lshl_b64 s[4:5], s[8:9], 12
.LBB12_9:                               ; =>This Inner Loop Header: Depth=1
	global_load_b32 v8, v[4:5], off
	v_add_nc_u64_e32 v[2:3], 0x400, v[2:3]
	s_wait_xcnt 0x0
	v_add_nc_u64_e32 v[4:5], s[4:5], v[4:5]
	s_delay_alu instid0(VALU_DEP_2)
	v_cmp_le_i64_e64 s0, s[2:3], v[2:3]
	s_or_b32 s6, s0, s6
	s_wait_loadcnt 0x0
	ds_store_b32 v7, v8
	v_add_nc_u32_e32 v7, 0x1000, v7
	s_and_not1_b32 exec_lo, exec_lo, s6
	s_cbranch_execnz .LBB12_9
.LBB12_10:
	s_or_b32 exec_lo, exec_lo, s28
	s_lshl_b64 s[4:5], s[20:21], 2
	s_lshl_b64 s[6:7], s[22:23], 2
	v_dual_mov_b32 v3, 0 :: v_dual_lshlrev_b32 v2, 2, v0
	s_add_nc_u64 s[4:5], s[4:5], s[6:7]
	s_lshl_b64 s[6:7], s[18:19], 2
	v_mov_b64_e32 v[8:9], v[0:1]
	s_add_nc_u64 s[4:5], s[4:5], s[6:7]
	s_delay_alu instid0(SALU_CYCLE_1) | instskip(NEXT) | instid1(SALU_CYCLE_1)
	s_add_nc_u64 s[4:5], s[16:17], s[4:5]
	v_add_nc_u64_e32 v[4:5], s[4:5], v[2:3]
	v_add3_u32 v2, v2, 0, 0x80
	s_mov_b32 s4, 0
.LBB12_11:                              ; =>This Inner Loop Header: Depth=1
	global_load_b32 v7, v[4:5], off
	ds_load_b32 v10, v2
	v_add_nc_u64_e32 v[8:9], 0x400, v[8:9]
	s_wait_xcnt 0x0
	v_add_nc_u64_e32 v[4:5], 0x1000, v[4:5]
	v_add_nc_u32_e32 v2, 0x1000, v2
	s_delay_alu instid0(VALU_DEP_3)
	v_cmp_le_i64_e64 s0, s[2:3], v[8:9]
	s_or_b32 s4, s0, s4
	s_wait_loadcnt_dscnt 0x0
	v_fmac_f32_e32 v3, v7, v10
	s_and_not1_b32 exec_lo, exec_lo, s4
	s_cbranch_execnz .LBB12_11
; %bb.12:
	s_or_b32 exec_lo, exec_lo, s4
.LBB12_13:
	s_delay_alu instid0(SALU_CYCLE_1) | instskip(SKIP_2) | instid1(VALU_DEP_1)
	s_or_b32 exec_lo, exec_lo, s1
	v_mbcnt_lo_u32_b32 v2, -1, 0
	s_mov_b32 s1, exec_lo
	v_cmp_ne_u32_e64 s0, 31, v2
	s_delay_alu instid0(VALU_DEP_1) | instskip(SKIP_1) | instid1(VALU_DEP_2)
	v_add_co_ci_u32_e64 v4, null, 0, v2, s0
	v_cmp_gt_u32_e64 s0, 30, v2
	v_lshlrev_b32_e32 v4, 2, v4
	s_delay_alu instid0(VALU_DEP_2)
	v_cndmask_b32_e64 v5, 0, 2, s0
	v_cmp_gt_u32_e64 s0, 28, v2
	ds_bpermute_b32 v4, v4, v3
	v_add_lshl_u32 v5, v5, v2, 2
	s_wait_dscnt 0x0
	v_add_f32_e32 v3, v3, v4
	ds_bpermute_b32 v4, v5, v3
	v_cndmask_b32_e64 v5, 0, 4, s0
	v_cmp_gt_u32_e64 s0, 24, v2
	s_delay_alu instid0(VALU_DEP_2) | instskip(SKIP_4) | instid1(VALU_DEP_1)
	v_add_lshl_u32 v5, v5, v2, 2
	s_wait_dscnt 0x0
	v_add_f32_e32 v3, v3, v4
	ds_bpermute_b32 v4, v5, v3
	v_cndmask_b32_e64 v5, 0, 8, s0
	v_add_lshl_u32 v5, v5, v2, 2
	v_lshl_or_b32 v2, v2, 2, 64
	s_wait_dscnt 0x0
	v_add_f32_e32 v3, v3, v4
	ds_bpermute_b32 v4, v5, v3
	s_wait_dscnt 0x0
	v_add_f32_e32 v3, v3, v4
	v_and_b32_e32 v4, 31, v0
	ds_bpermute_b32 v2, v2, v3
	s_wait_dscnt 0x0
	v_add_f32_e32 v2, v3, v2
	v_cmpx_eq_u32_e32 0, v4
; %bb.14:
	v_lshrrev_b32_e32 v3, 3, v0
	s_delay_alu instid0(VALU_DEP_1)
	v_add_nc_u32_e32 v3, 0, v3
	ds_store_b32 v3, v2
; %bb.15:
	s_or_b32 exec_lo, exec_lo, s1
	s_delay_alu instid0(SALU_CYCLE_1)
	s_mov_b32 s1, exec_lo
	s_wait_dscnt 0x0
	s_barrier_signal -1
	s_barrier_wait -1
	v_cmpx_eq_u32_e32 0, v0
	s_cbranch_execz .LBB12_17
; %bb.16:
	v_mov_b32_e32 v7, 0
	ds_load_2addr_b32 v[4:5], v7 offset0:1 offset1:2
	ds_load_2addr_b32 v[8:9], v7 offset0:3 offset1:4
	;; [unrolled: 1-line block ×4, first 2 shown]
	s_wait_dscnt 0x3
	v_add_f32_e32 v2, v2, v4
	s_delay_alu instid0(VALU_DEP_1) | instskip(SKIP_1) | instid1(VALU_DEP_1)
	v_add_f32_e32 v2, v2, v5
	s_wait_dscnt 0x2
	v_add_f32_e32 v2, v2, v8
	s_delay_alu instid0(VALU_DEP_1) | instskip(SKIP_3) | instid1(VALU_DEP_1)
	v_add_f32_e32 v4, v2, v9
	ds_load_2addr_b32 v[2:3], v7 offset0:9 offset1:10
	s_wait_dscnt 0x2
	v_add_f32_e32 v4, v4, v10
	v_add_f32_e32 v8, v4, v11
	ds_load_2addr_b32 v[4:5], v7 offset0:11 offset1:12
	s_wait_dscnt 0x2
	v_add_f32_e32 v8, v8, v12
	s_delay_alu instid0(VALU_DEP_1) | instskip(SKIP_4) | instid1(VALU_DEP_1)
	v_add_f32_e32 v12, v8, v13
	ds_load_2addr_b32 v[8:9], v7 offset0:13 offset1:14
	ds_load_2addr_b32 v[10:11], v7 offset0:15 offset1:16
	s_wait_dscnt 0x3
	v_add_f32_e32 v2, v12, v2
	v_add_f32_e32 v2, v2, v3
	s_wait_dscnt 0x2
	s_delay_alu instid0(VALU_DEP_1) | instskip(NEXT) | instid1(VALU_DEP_1)
	v_add_f32_e32 v2, v2, v4
	v_add_f32_e32 v4, v2, v5
	ds_load_2addr_b32 v[2:3], v7 offset0:17 offset1:18
	s_wait_dscnt 0x2
	v_add_f32_e32 v4, v4, v8
	s_delay_alu instid0(VALU_DEP_1) | instskip(SKIP_3) | instid1(VALU_DEP_1)
	v_add_f32_e32 v8, v4, v9
	ds_load_2addr_b32 v[4:5], v7 offset0:19 offset1:20
	s_wait_dscnt 0x2
	v_add_f32_e32 v8, v8, v10
	v_add_f32_e32 v12, v8, v11
	ds_load_2addr_b32 v[8:9], v7 offset0:21 offset1:22
	ds_load_2addr_b32 v[10:11], v7 offset0:23 offset1:24
	s_wait_dscnt 0x3
	v_add_f32_e32 v2, v12, v2
	s_delay_alu instid0(VALU_DEP_1) | instskip(SKIP_1) | instid1(VALU_DEP_1)
	v_add_f32_e32 v2, v2, v3
	s_wait_dscnt 0x2
	v_add_f32_e32 v2, v2, v4
	s_delay_alu instid0(VALU_DEP_1) | instskip(SKIP_1) | instid1(VALU_DEP_1)
	v_add_f32_e32 v2, v2, v5
	s_wait_dscnt 0x1
	v_add_f32_e32 v4, v2, v8
	ds_load_2addr_b32 v[2:3], v7 offset0:25 offset1:26
	v_add_f32_e32 v4, v4, v9
	s_wait_dscnt 0x1
	s_delay_alu instid0(VALU_DEP_1)
	v_add_f32_e32 v8, v4, v10
	ds_load_2addr_b32 v[4:5], v7 offset0:27 offset1:28
	v_add_f32_e32 v10, v8, v11
	ds_load_2addr_b32 v[8:9], v7 offset0:29 offset1:30
	ds_load_b32 v11, v7 offset:124
	s_wait_dscnt 0x3
	v_add_f32_e32 v2, v10, v2
	s_delay_alu instid0(VALU_DEP_1) | instskip(SKIP_1) | instid1(VALU_DEP_1)
	v_add_f32_e32 v2, v2, v3
	s_wait_dscnt 0x2
	v_add_f32_e32 v2, v2, v4
	s_delay_alu instid0(VALU_DEP_1) | instskip(SKIP_1) | instid1(VALU_DEP_1)
	v_add_f32_e32 v2, v2, v5
	;; [unrolled: 4-line block ×3, first 2 shown]
	s_wait_dscnt 0x0
	v_add_f32_e32 v2, v2, v11
	ds_store_b32 v7, v2
.LBB12_17:
	s_or_b32 exec_lo, exec_lo, s1
	s_wait_dscnt 0x0
	s_barrier_signal -1
	s_barrier_wait -1
	s_and_saveexec_b32 s0, vcc_lo
	s_cbranch_execz .LBB12_27
; %bb.18:
	s_mul_u64 s[0:1], s[14:15], s[24:25]
	v_dual_mov_b32 v11, 0 :: v_dual_mov_b32 v7, -1
	s_lshl_b64 s[0:1], s[0:1], 2
                                        ; implicit-def: $vgpr8_vgpr9
                                        ; implicit-def: $vgpr4_vgpr5
	s_delay_alu instid0(SALU_CYCLE_1)
	s_add_nc_u64 s[0:1], s[12:13], s[0:1]
	ds_load_b32 v2, v11
	s_load_b32 s0, s[0:1], 0x0
	v_add_nc_u64_e32 v[12:13], s[2:3], v[6:7]
	s_wait_xcnt 0x0
	s_mov_b32 s1, exec_lo
	s_wait_kmcnt 0x0
	s_xor_b32 s0, s0, 0x80000000
	s_wait_dscnt 0x0
	v_mul_f32_e32 v6, s0, v2
	s_mov_b32 s0, 0
                                        ; implicit-def: $vgpr2_vgpr3
	v_cmpx_lt_u64_e32 0x3ff, v[12:13]
	s_xor_b32 s6, exec_lo, s1
	s_cbranch_execnz .LBB12_21
; %bb.19:
	s_and_not1_saveexec_b32 s1, s6
	s_cbranch_execnz .LBB12_24
.LBB12_20:
	s_or_b32 exec_lo, exec_lo, s1
	s_delay_alu instid0(SALU_CYCLE_1)
	s_and_b32 exec_lo, exec_lo, s0
	s_cbranch_execnz .LBB12_25
	s_branch .LBB12_27
.LBB12_21:
	v_lshrrev_b64 v[2:3], 10, v[12:13]
	s_lshl_b64 s[4:5], s[20:21], 2
	s_lshl_b64 s[8:9], s[22:23], 2
	;; [unrolled: 1-line block ×3, first 2 shown]
	s_add_nc_u64 s[4:5], s[4:5], s[8:9]
	v_mov_b32_e32 v7, v6
	s_add_nc_u64 s[8:9], s[4:5], s[0:1]
	v_add_nc_u64_e32 v[8:9], 1, v[2:3]
	v_lshlrev_b32_e32 v10, 2, v0
	s_add_nc_u64 s[8:9], s[16:17], s[8:9]
	v_or_b32_e32 v2, 0x400, v0
	s_mov_b32 s7, 0
	v_mov_b32_e32 v3, v1
	v_add_nc_u64_e32 v[4:5], s[8:9], v[10:11]
	v_dual_mov_b32 v11, v9 :: v_dual_bitop2_b32 v10, -2, v8 bitop3:0x40
	s_delay_alu instid0(VALU_DEP_2) | instskip(NEXT) | instid1(VALU_DEP_4)
	v_add_nc_u64_e32 v[12:13], 0x1000, v[4:5]
	v_mov_b64_e32 v[4:5], v[2:3]
	s_delay_alu instid0(VALU_DEP_3)
	v_mov_b64_e32 v[14:15], v[10:11]
	v_mov_b64_e32 v[2:3], v[0:1]
.LBB12_22:                              ; =>This Inner Loop Header: Depth=1
	s_clause 0x1
	global_load_b32 v16, v[12:13], off offset:-4096
	global_load_b32 v17, v[12:13], off
	v_lshl_add_u32 v1, v2, 2, 0
	v_lshl_add_u32 v19, v4, 2, 0
	v_add_nc_u64_e32 v[14:15], -2, v[14:15]
	v_add_nc_u64_e32 v[4:5], 0x800, v[4:5]
	ds_load_b32 v18, v1 offset:128
	ds_load_b32 v19, v19 offset:128
	v_add_nc_u64_e32 v[2:3], 0x800, v[2:3]
	v_cmp_eq_u64_e32 vcc_lo, 0, v[14:15]
	s_or_b32 s7, vcc_lo, s7
	s_wait_loadcnt_dscnt 0x0
	v_pk_fma_f32 v[16:17], v[6:7], v[18:19], v[16:17]
	s_clause 0x1
	global_store_b32 v[12:13], v16, off offset:-4096
	global_store_b32 v[12:13], v17, off
	s_wait_xcnt 0x0
	v_add_nc_u64_e32 v[12:13], 0x2000, v[12:13]
	s_and_not1_b32 exec_lo, exec_lo, s7
	s_cbranch_execnz .LBB12_22
; %bb.23:
	s_or_b32 exec_lo, exec_lo, s7
	v_lshlrev_b64_e32 v[2:3], 10, v[10:11]
	v_cmp_ne_u64_e32 vcc_lo, v[8:9], v[10:11]
	v_mov_b64_e32 v[4:5], s[0:1]
	v_mov_b64_e32 v[8:9], s[4:5]
	s_delay_alu instid0(VALU_DEP_4)
	v_or_b32_e32 v2, v2, v0
	s_and_b32 s0, vcc_lo, exec_lo
                                        ; implicit-def: $vgpr0_vgpr1
	s_and_not1_saveexec_b32 s1, s6
	s_cbranch_execz .LBB12_20
.LBB12_24:
	s_lshl_b64 s[4:5], s[20:21], 2
	s_lshl_b64 s[6:7], s[22:23], 2
	v_mov_b64_e32 v[2:3], v[0:1]
	s_add_nc_u64 s[4:5], s[4:5], s[6:7]
	s_lshl_b64 s[6:7], s[18:19], 2
	v_mov_b64_e32 v[8:9], s[4:5]
	v_mov_b64_e32 v[4:5], s[6:7]
	s_or_b32 s0, s0, exec_lo
	s_or_b32 exec_lo, exec_lo, s1
	s_delay_alu instid0(SALU_CYCLE_1)
	s_and_b32 exec_lo, exec_lo, s0
	s_cbranch_execz .LBB12_27
.LBB12_25:
	s_delay_alu instid0(VALU_DEP_2) | instskip(SKIP_1) | instid1(VALU_DEP_1)
	v_lshl_add_u64 v[0:1], v[2:3], 2, v[8:9]
	s_mov_b32 s0, 0
	v_add_nc_u64_e32 v[0:1], v[0:1], v[4:5]
	v_lshlrev_b32_e32 v4, 2, v2
	s_delay_alu instid0(VALU_DEP_1) | instskip(NEXT) | instid1(VALU_DEP_3)
	v_add3_u32 v4, v4, 0, 0x80
	v_add_nc_u64_e32 v[0:1], s[16:17], v[0:1]
.LBB12_26:                              ; =>This Inner Loop Header: Depth=1
	global_load_b32 v5, v[0:1], off
	ds_load_b32 v7, v4
	v_add_nc_u64_e32 v[2:3], 0x400, v[2:3]
	v_add_nc_u32_e32 v4, 0x1000, v4
	s_delay_alu instid0(VALU_DEP_2)
	v_cmp_le_i64_e32 vcc_lo, s[2:3], v[2:3]
	s_or_b32 s0, vcc_lo, s0
	s_wait_loadcnt_dscnt 0x0
	v_fmac_f32_e32 v5, v6, v7
	global_store_b32 v[0:1], v5, off
	s_wait_xcnt 0x0
	v_add_nc_u64_e32 v[0:1], 0x1000, v[0:1]
	s_and_not1_b32 exec_lo, exec_lo, s0
	s_cbranch_execnz .LBB12_26
.LBB12_27:
	s_endpgm
	.section	.rodata,"a",@progbits
	.p2align	6, 0x0
	.amdhsa_kernel _ZN9rocsolver6v33100L16larf_left_kernelILi1024EflPfEEvT1_S3_T2_lS3_lPKT0_lS4_lS3_l
		.amdhsa_group_segment_fixed_size 0
		.amdhsa_private_segment_fixed_size 0
		.amdhsa_kernarg_size 96
		.amdhsa_user_sgpr_count 2
		.amdhsa_user_sgpr_dispatch_ptr 0
		.amdhsa_user_sgpr_queue_ptr 0
		.amdhsa_user_sgpr_kernarg_segment_ptr 1
		.amdhsa_user_sgpr_dispatch_id 0
		.amdhsa_user_sgpr_kernarg_preload_length 0
		.amdhsa_user_sgpr_kernarg_preload_offset 0
		.amdhsa_user_sgpr_private_segment_size 0
		.amdhsa_wavefront_size32 1
		.amdhsa_uses_dynamic_stack 0
		.amdhsa_enable_private_segment 0
		.amdhsa_system_sgpr_workgroup_id_x 1
		.amdhsa_system_sgpr_workgroup_id_y 1
		.amdhsa_system_sgpr_workgroup_id_z 1
		.amdhsa_system_sgpr_workgroup_info 0
		.amdhsa_system_vgpr_workitem_id 0
		.amdhsa_next_free_vgpr 20
		.amdhsa_next_free_sgpr 36
		.amdhsa_named_barrier_count 0
		.amdhsa_reserve_vcc 1
		.amdhsa_float_round_mode_32 0
		.amdhsa_float_round_mode_16_64 0
		.amdhsa_float_denorm_mode_32 3
		.amdhsa_float_denorm_mode_16_64 3
		.amdhsa_fp16_overflow 0
		.amdhsa_memory_ordered 1
		.amdhsa_forward_progress 1
		.amdhsa_inst_pref_size 17
		.amdhsa_round_robin_scheduling 0
		.amdhsa_exception_fp_ieee_invalid_op 0
		.amdhsa_exception_fp_denorm_src 0
		.amdhsa_exception_fp_ieee_div_zero 0
		.amdhsa_exception_fp_ieee_overflow 0
		.amdhsa_exception_fp_ieee_underflow 0
		.amdhsa_exception_fp_ieee_inexact 0
		.amdhsa_exception_int_div_zero 0
	.end_amdhsa_kernel
	.section	.text._ZN9rocsolver6v33100L16larf_left_kernelILi1024EflPfEEvT1_S3_T2_lS3_lPKT0_lS4_lS3_l,"axG",@progbits,_ZN9rocsolver6v33100L16larf_left_kernelILi1024EflPfEEvT1_S3_T2_lS3_lPKT0_lS4_lS3_l,comdat
.Lfunc_end12:
	.size	_ZN9rocsolver6v33100L16larf_left_kernelILi1024EflPfEEvT1_S3_T2_lS3_lPKT0_lS4_lS3_l, .Lfunc_end12-_ZN9rocsolver6v33100L16larf_left_kernelILi1024EflPfEEvT1_S3_T2_lS3_lPKT0_lS4_lS3_l
                                        ; -- End function
	.set _ZN9rocsolver6v33100L16larf_left_kernelILi1024EflPfEEvT1_S3_T2_lS3_lPKT0_lS4_lS3_l.num_vgpr, 20
	.set _ZN9rocsolver6v33100L16larf_left_kernelILi1024EflPfEEvT1_S3_T2_lS3_lPKT0_lS4_lS3_l.num_agpr, 0
	.set _ZN9rocsolver6v33100L16larf_left_kernelILi1024EflPfEEvT1_S3_T2_lS3_lPKT0_lS4_lS3_l.numbered_sgpr, 36
	.set _ZN9rocsolver6v33100L16larf_left_kernelILi1024EflPfEEvT1_S3_T2_lS3_lPKT0_lS4_lS3_l.num_named_barrier, 0
	.set _ZN9rocsolver6v33100L16larf_left_kernelILi1024EflPfEEvT1_S3_T2_lS3_lPKT0_lS4_lS3_l.private_seg_size, 0
	.set _ZN9rocsolver6v33100L16larf_left_kernelILi1024EflPfEEvT1_S3_T2_lS3_lPKT0_lS4_lS3_l.uses_vcc, 1
	.set _ZN9rocsolver6v33100L16larf_left_kernelILi1024EflPfEEvT1_S3_T2_lS3_lPKT0_lS4_lS3_l.uses_flat_scratch, 0
	.set _ZN9rocsolver6v33100L16larf_left_kernelILi1024EflPfEEvT1_S3_T2_lS3_lPKT0_lS4_lS3_l.has_dyn_sized_stack, 0
	.set _ZN9rocsolver6v33100L16larf_left_kernelILi1024EflPfEEvT1_S3_T2_lS3_lPKT0_lS4_lS3_l.has_recursion, 0
	.set _ZN9rocsolver6v33100L16larf_left_kernelILi1024EflPfEEvT1_S3_T2_lS3_lPKT0_lS4_lS3_l.has_indirect_call, 0
	.section	.AMDGPU.csdata,"",@progbits
; Kernel info:
; codeLenInByte = 2064
; TotalNumSgprs: 38
; NumVgprs: 20
; ScratchSize: 0
; MemoryBound: 0
; FloatMode: 240
; IeeeMode: 1
; LDSByteSize: 0 bytes/workgroup (compile time only)
; SGPRBlocks: 0
; VGPRBlocks: 1
; NumSGPRsForWavesPerEU: 38
; NumVGPRsForWavesPerEU: 20
; NamedBarCnt: 0
; Occupancy: 16
; WaveLimiterHint : 1
; COMPUTE_PGM_RSRC2:SCRATCH_EN: 0
; COMPUTE_PGM_RSRC2:USER_SGPR: 2
; COMPUTE_PGM_RSRC2:TRAP_HANDLER: 0
; COMPUTE_PGM_RSRC2:TGID_X_EN: 1
; COMPUTE_PGM_RSRC2:TGID_Y_EN: 1
; COMPUTE_PGM_RSRC2:TGID_Z_EN: 1
; COMPUTE_PGM_RSRC2:TIDIG_COMP_CNT: 0
	.section	.text._ZN9rocsolver6v33100L17larf_right_kernelILi1024EflPfEEvT1_S3_T2_lS3_lPKT0_lS4_lS3_l,"axG",@progbits,_ZN9rocsolver6v33100L17larf_right_kernelILi1024EflPfEEvT1_S3_T2_lS3_lPKT0_lS4_lS3_l,comdat
	.globl	_ZN9rocsolver6v33100L17larf_right_kernelILi1024EflPfEEvT1_S3_T2_lS3_lPKT0_lS4_lS3_l ; -- Begin function _ZN9rocsolver6v33100L17larf_right_kernelILi1024EflPfEEvT1_S3_T2_lS3_lPKT0_lS4_lS3_l
	.p2align	8
	.type	_ZN9rocsolver6v33100L17larf_right_kernelILi1024EflPfEEvT1_S3_T2_lS3_lPKT0_lS4_lS3_l,@function
_ZN9rocsolver6v33100L17larf_right_kernelILi1024EflPfEEvT1_S3_T2_lS3_lPKT0_lS4_lS3_l: ; @_ZN9rocsolver6v33100L17larf_right_kernelILi1024EflPfEEvT1_S3_T2_lS3_lPKT0_lS4_lS3_l
; %bb.0:
	s_load_b512 s[4:19], s[0:1], 0x8
	s_mov_b64 s[26:27], 0
	s_wait_kmcnt 0x0
	v_cmp_gt_i64_e64 s2, s[10:11], 0
	s_and_b32 vcc_lo, exec_lo, s2
	s_cbranch_vccnz .LBB13_2
; %bb.1:
	s_sub_nc_u64 s[2:3], 1, s[4:5]
	s_delay_alu instid0(SALU_CYCLE_1)
	s_mul_u64 s[26:27], s[10:11], s[2:3]
.LBB13_2:
	s_clause 0x1
	s_load_b128 s[20:23], s[0:1], 0x48
	s_load_b64 s[24:25], s[0:1], 0x58
	s_wait_xcnt 0x0
	s_bfe_u32 s0, ttmp6, 0x40010
	s_bfe_u32 s2, ttmp6, 0x40014
	s_and_b32 s1, ttmp7, 0xffff
	s_add_co_i32 s0, s0, 1
	v_mov_b32_e32 v1, 0
	s_lshr_b32 s28, ttmp7, 16
	s_add_co_i32 s2, s2, 1
	s_mul_i32 s0, s1, s0
	s_bfe_u32 s29, ttmp6, 0x40004
	s_mul_i32 s2, s28, s2
	s_bfe_u32 s30, ttmp6, 0x40008
	s_add_co_i32 s29, s29, s0
	s_getreg_b32 s0, hwreg(HW_REG_IB_STS2, 6, 4)
	s_add_co_i32 s30, s30, s2
	v_cmp_gt_i64_e32 vcc_lo, s[4:5], v[0:1]
	s_cmp_eq_u32 s0, 0
	v_mov_b32_e32 v6, v1
	s_mov_b32 s3, 0
	s_cselect_b32 s2, s28, s30
	s_cselect_b32 s33, s1, s29
	s_wait_kmcnt 0x0
	s_mul_u64 s[24:25], s[24:25], s[2:3]
	s_and_saveexec_b32 s36, vcc_lo
	s_cbranch_execz .LBB13_13
; %bb.3:
	v_mov_b32_e32 v3, -1
	v_not_b32_e32 v2, v0
	s_mul_u64 s[12:13], s[12:13], s[2:3]
	s_mov_b32 s28, -1
	s_mov_b32 s1, exec_lo
	s_delay_alu instid0(VALU_DEP_1) | instskip(SKIP_1) | instid1(VALU_DEP_2)
	v_add_nc_u64_e32 v[4:5], s[4:5], v[2:3]
	v_mov_b64_e32 v[2:3], v[0:1]
	v_cmpx_lt_u64_e32 0x3ff, v[4:5]
	s_cbranch_execz .LBB13_7
; %bb.4:
	v_lshrrev_b64 v[2:3], 10, v[4:5]
	s_lshl_b64 s[30:31], s[12:13], 2
	s_lshl_b64 s[34:35], s[8:9], 2
	s_add_nc_u64 s[30:31], s[6:7], s[30:31]
	s_lshl_b64 s[38:39], s[26:27], 2
	s_add_nc_u64 s[30:31], s[30:31], s[34:35]
	s_mov_b32 s28, s10
	v_add_nc_u64_e32 v[6:7], 1, v[2:3]
	v_or_b32_e32 v2, 0x400, v0
	v_mov_b32_e32 v3, v1
	s_mov_b32 s29, s11
	s_add_nc_u64 s[30:31], s[30:31], s[38:39]
	s_mov_b32 s34, s10
	s_mov_b32 s35, s11
	v_dual_mov_b32 v9, v7 :: v_dual_bitop2_b32 v8, -2, v6 bitop3:0x40
	v_mov_b64_e32 v[4:5], v[2:3]
	v_mov_b64_e32 v[2:3], v[0:1]
	s_mov_b32 s37, 0
	s_delay_alu instid0(VALU_DEP_3)
	v_mov_b64_e32 v[10:11], v[8:9]
.LBB13_5:                               ; =>This Inner Loop Header: Depth=1
	s_delay_alu instid0(VALU_DEP_2) | instskip(NEXT) | instid1(VALU_DEP_4)
	v_mul_u64_e32 v[12:13], s[28:29], v[2:3]
	v_mul_u64_e32 v[14:15], s[34:35], v[4:5]
	s_delay_alu instid0(VALU_DEP_3) | instskip(NEXT) | instid1(VALU_DEP_1)
	v_add_nc_u64_e32 v[10:11], -2, v[10:11]
	v_cmp_eq_u64_e64 s0, 0, v[10:11]
	s_or_b32 s37, s0, s37
	v_lshl_add_u64 v[12:13], v[12:13], 2, s[30:31]
	v_lshl_add_u64 v[14:15], v[14:15], 2, s[30:31]
	s_clause 0x1
	global_load_b32 v16, v[12:13], off
	global_load_b32 v17, v[14:15], off
	s_wait_xcnt 0x1
	v_lshl_add_u32 v12, v2, 2, 0
	v_lshl_add_u32 v13, v4, 2, 0
	v_add_nc_u64_e32 v[4:5], 0x800, v[4:5]
	v_add_nc_u64_e32 v[2:3], 0x800, v[2:3]
	s_wait_loadcnt 0x1
	ds_store_b32 v12, v16 offset:128
	s_wait_loadcnt 0x0
	ds_store_b32 v13, v17 offset:128
	s_wait_xcnt 0x0
	s_and_not1_b32 exec_lo, exec_lo, s37
	s_cbranch_execnz .LBB13_5
; %bb.6:
	s_or_b32 exec_lo, exec_lo, s37
	v_lshlrev_b64_e32 v[2:3], 10, v[8:9]
	v_cmp_ne_u64_e64 s0, v[6:7], v[8:9]
	s_delay_alu instid0(VALU_DEP_2)
	v_or_b32_e32 v2, v2, v0
	s_or_not1_b32 s28, s0, exec_lo
.LBB13_7:
	s_or_b32 exec_lo, exec_lo, s1
	s_and_saveexec_b32 s1, s28
	s_cbranch_execz .LBB13_10
; %bb.8:
	s_delay_alu instid0(VALU_DEP_1)
	v_mul_u64_e32 v[4:5], s[10:11], v[2:3]
	s_lshl_b64 s[8:9], s[8:9], 2
	s_lshl_b64 s[26:27], s[26:27], 2
	s_add_nc_u64 s[6:7], s[6:7], s[8:9]
	v_lshlrev_b32_e32 v6, 2, v2
	s_lshl_b64 s[12:13], s[12:13], 2
	s_add_nc_u64 s[6:7], s[6:7], s[26:27]
	s_mov_b32 s8, 0
	s_add_nc_u64 s[6:7], s[6:7], s[12:13]
	v_add3_u32 v6, v6, 0, 0x80
	s_delay_alu instid0(VALU_DEP_3)
	v_lshl_add_u64 v[4:5], v[4:5], 2, s[6:7]
	s_lshl_b64 s[6:7], s[10:11], 12
.LBB13_9:                               ; =>This Inner Loop Header: Depth=1
	global_load_b32 v7, v[4:5], off
	v_add_nc_u64_e32 v[2:3], 0x400, v[2:3]
	s_wait_xcnt 0x0
	v_add_nc_u64_e32 v[4:5], s[6:7], v[4:5]
	s_delay_alu instid0(VALU_DEP_2)
	v_cmp_le_i64_e64 s0, s[4:5], v[2:3]
	s_or_b32 s8, s0, s8
	s_wait_loadcnt 0x0
	ds_store_b32 v6, v7
	v_add_nc_u32_e32 v6, 0x1000, v6
	s_and_not1_b32 exec_lo, exec_lo, s8
	s_cbranch_execnz .LBB13_9
.LBB13_10:
	s_or_b32 exec_lo, exec_lo, s1
	v_mul_u64_e32 v[2:3], s[22:23], v[0:1]
	s_lshl_b32 s0, s33, 2
	s_mov_b32 s1, 0
	v_dual_lshlrev_b32 v4, 2, v0 :: v_dual_mov_b32 v6, 0
	s_lshl_b64 s[6:7], s[20:21], 2
	s_add_nc_u64 s[8:9], s[18:19], s[0:1]
	s_lshl_b64 s[10:11], s[24:25], 2
	s_add_nc_u64 s[6:7], s[8:9], s[6:7]
	v_add3_u32 v7, v4, 0, 0x80
	s_add_nc_u64 s[6:7], s[6:7], s[10:11]
	v_mov_b64_e32 v[4:5], v[0:1]
	s_delay_alu instid0(VALU_DEP_4)
	v_lshl_add_u64 v[2:3], v[2:3], 2, s[6:7]
	s_lshl_b64 s[6:7], s[22:23], 12
.LBB13_11:                              ; =>This Inner Loop Header: Depth=1
	global_load_b32 v8, v[2:3], off
	ds_load_b32 v9, v7
	v_add_nc_u64_e32 v[4:5], 0x400, v[4:5]
	s_wait_xcnt 0x0
	v_add_nc_u64_e32 v[2:3], s[6:7], v[2:3]
	v_add_nc_u32_e32 v7, 0x1000, v7
	s_delay_alu instid0(VALU_DEP_3)
	v_cmp_le_i64_e64 s0, s[4:5], v[4:5]
	s_or_b32 s1, s0, s1
	s_wait_loadcnt_dscnt 0x0
	v_fmac_f32_e32 v6, v8, v9
	s_and_not1_b32 exec_lo, exec_lo, s1
	s_cbranch_execnz .LBB13_11
; %bb.12:
	s_or_b32 exec_lo, exec_lo, s1
.LBB13_13:
	s_delay_alu instid0(SALU_CYCLE_1) | instskip(SKIP_2) | instid1(VALU_DEP_1)
	s_or_b32 exec_lo, exec_lo, s36
	v_mbcnt_lo_u32_b32 v2, -1, 0
	s_mov_b32 s1, exec_lo
	v_cmp_ne_u32_e64 s0, 31, v2
	s_delay_alu instid0(VALU_DEP_1) | instskip(SKIP_1) | instid1(VALU_DEP_2)
	v_add_co_ci_u32_e64 v3, null, 0, v2, s0
	v_cmp_gt_u32_e64 s0, 30, v2
	v_lshlrev_b32_e32 v3, 2, v3
	s_delay_alu instid0(VALU_DEP_2)
	v_cndmask_b32_e64 v4, 0, 2, s0
	v_cmp_gt_u32_e64 s0, 28, v2
	ds_bpermute_b32 v3, v3, v6
	v_add_lshl_u32 v4, v4, v2, 2
	v_cndmask_b32_e64 v5, 0, 4, s0
	v_cmp_gt_u32_e64 s0, 24, v2
	s_delay_alu instid0(VALU_DEP_2)
	v_add_lshl_u32 v5, v5, v2, 2
	s_wait_dscnt 0x0
	v_add_f32_e32 v3, v6, v3
	ds_bpermute_b32 v4, v4, v3
	s_wait_dscnt 0x0
	v_add_f32_e32 v3, v3, v4
	ds_bpermute_b32 v4, v5, v3
	v_cndmask_b32_e64 v5, 0, 8, s0
	s_delay_alu instid0(VALU_DEP_1)
	v_add_lshl_u32 v5, v5, v2, 2
	v_lshl_or_b32 v2, v2, 2, 64
	s_wait_dscnt 0x0
	v_add_f32_e32 v3, v3, v4
	ds_bpermute_b32 v4, v5, v3
	s_wait_dscnt 0x0
	v_add_f32_e32 v3, v3, v4
	v_and_b32_e32 v4, 31, v0
	ds_bpermute_b32 v2, v2, v3
	s_wait_dscnt 0x0
	v_add_f32_e32 v2, v3, v2
	v_cmpx_eq_u32_e32 0, v4
; %bb.14:
	v_lshrrev_b32_e32 v3, 3, v0
	s_delay_alu instid0(VALU_DEP_1)
	v_add_nc_u32_e32 v3, 0, v3
	ds_store_b32 v3, v2
; %bb.15:
	s_or_b32 exec_lo, exec_lo, s1
	s_delay_alu instid0(SALU_CYCLE_1)
	s_mov_b32 s1, exec_lo
	s_wait_dscnt 0x0
	s_barrier_signal -1
	s_barrier_wait -1
	v_cmpx_eq_u32_e32 0, v0
	s_cbranch_execz .LBB13_17
; %bb.16:
	v_mov_b32_e32 v12, 0
	ds_load_2addr_b32 v[4:5], v12 offset0:1 offset1:2
	ds_load_2addr_b32 v[6:7], v12 offset0:3 offset1:4
	;; [unrolled: 1-line block ×4, first 2 shown]
	s_wait_dscnt 0x3
	v_add_f32_e32 v2, v2, v4
	s_delay_alu instid0(VALU_DEP_1) | instskip(SKIP_1) | instid1(VALU_DEP_1)
	v_add_f32_e32 v2, v2, v5
	s_wait_dscnt 0x2
	v_add_f32_e32 v2, v2, v6
	s_delay_alu instid0(VALU_DEP_1) | instskip(SKIP_3) | instid1(VALU_DEP_1)
	v_add_f32_e32 v4, v2, v7
	ds_load_2addr_b32 v[2:3], v12 offset0:9 offset1:10
	s_wait_dscnt 0x2
	v_add_f32_e32 v4, v4, v8
	v_add_f32_e32 v6, v4, v9
	ds_load_2addr_b32 v[4:5], v12 offset0:11 offset1:12
	s_wait_dscnt 0x2
	v_add_f32_e32 v6, v6, v10
	s_delay_alu instid0(VALU_DEP_1) | instskip(SKIP_4) | instid1(VALU_DEP_1)
	v_add_f32_e32 v10, v6, v11
	ds_load_2addr_b32 v[6:7], v12 offset0:13 offset1:14
	ds_load_2addr_b32 v[8:9], v12 offset0:15 offset1:16
	s_wait_dscnt 0x3
	v_add_f32_e32 v2, v10, v2
	v_add_f32_e32 v2, v2, v3
	s_wait_dscnt 0x2
	s_delay_alu instid0(VALU_DEP_1) | instskip(NEXT) | instid1(VALU_DEP_1)
	v_add_f32_e32 v2, v2, v4
	v_add_f32_e32 v4, v2, v5
	ds_load_2addr_b32 v[2:3], v12 offset0:17 offset1:18
	s_wait_dscnt 0x2
	v_add_f32_e32 v4, v4, v6
	s_delay_alu instid0(VALU_DEP_1) | instskip(SKIP_3) | instid1(VALU_DEP_1)
	v_add_f32_e32 v6, v4, v7
	ds_load_2addr_b32 v[4:5], v12 offset0:19 offset1:20
	s_wait_dscnt 0x2
	v_add_f32_e32 v6, v6, v8
	v_add_f32_e32 v10, v6, v9
	ds_load_2addr_b32 v[6:7], v12 offset0:21 offset1:22
	ds_load_2addr_b32 v[8:9], v12 offset0:23 offset1:24
	s_wait_dscnt 0x3
	v_add_f32_e32 v2, v10, v2
	s_delay_alu instid0(VALU_DEP_1) | instskip(SKIP_1) | instid1(VALU_DEP_1)
	v_add_f32_e32 v2, v2, v3
	s_wait_dscnt 0x2
	v_add_f32_e32 v2, v2, v4
	s_delay_alu instid0(VALU_DEP_1) | instskip(SKIP_1) | instid1(VALU_DEP_1)
	v_add_f32_e32 v2, v2, v5
	s_wait_dscnt 0x1
	v_add_f32_e32 v4, v2, v6
	ds_load_2addr_b32 v[2:3], v12 offset0:25 offset1:26
	v_add_f32_e32 v4, v4, v7
	s_wait_dscnt 0x1
	s_delay_alu instid0(VALU_DEP_1)
	v_add_f32_e32 v6, v4, v8
	ds_load_2addr_b32 v[4:5], v12 offset0:27 offset1:28
	v_add_f32_e32 v8, v6, v9
	ds_load_2addr_b32 v[6:7], v12 offset0:29 offset1:30
	ds_load_b32 v9, v12 offset:124
	s_wait_dscnt 0x3
	v_add_f32_e32 v2, v8, v2
	s_delay_alu instid0(VALU_DEP_1) | instskip(SKIP_1) | instid1(VALU_DEP_1)
	v_add_f32_e32 v2, v2, v3
	s_wait_dscnt 0x2
	v_add_f32_e32 v2, v2, v4
	s_delay_alu instid0(VALU_DEP_1) | instskip(SKIP_1) | instid1(VALU_DEP_1)
	v_add_f32_e32 v2, v2, v5
	;; [unrolled: 4-line block ×3, first 2 shown]
	s_wait_dscnt 0x0
	v_add_f32_e32 v2, v2, v9
	ds_store_b32 v12, v2
.LBB13_17:
	s_or_b32 exec_lo, exec_lo, s1
	s_wait_dscnt 0x0
	s_barrier_signal -1
	s_barrier_wait -1
	s_and_saveexec_b32 s0, vcc_lo
	s_cbranch_execz .LBB13_20
; %bb.18:
	v_mul_u64_e32 v[2:3], s[22:23], v[0:1]
	s_mul_u64 s[0:1], s[16:17], s[2:3]
	v_dual_mov_b32 v4, 0 :: v_dual_lshlrev_b32 v5, 2, v0
	s_lshl_b64 s[0:1], s[0:1], 2
	s_lshl_b64 s[6:7], s[20:21], 2
	s_add_nc_u64 s[0:1], s[14:15], s[0:1]
	ds_load_b32 v4, v4
	s_load_b32 s10, s[0:1], 0x0
	s_wait_xcnt 0x0
	s_mov_b32 s1, 0
	s_lshl_b32 s0, s33, 2
	s_lshl_b64 s[2:3], s[24:25], 2
	s_add_nc_u64 s[8:9], s[18:19], s[0:1]
	v_add3_u32 v5, v5, 0, 0x80
	s_add_nc_u64 s[6:7], s[8:9], s[6:7]
	s_delay_alu instid0(SALU_CYCLE_1)
	s_add_nc_u64 s[2:3], s[6:7], s[2:3]
	s_wait_kmcnt 0x0
	s_xor_b32 s0, s10, 0x80000000
	s_wait_dscnt 0x0
	v_mul_f32_e32 v4, s0, v4
	v_lshl_add_u64 v[2:3], v[2:3], 2, s[2:3]
	s_lshl_b64 s[2:3], s[22:23], 12
.LBB13_19:                              ; =>This Inner Loop Header: Depth=1
	global_load_b32 v6, v[2:3], off
	ds_load_b32 v7, v5
	v_add_nc_u64_e32 v[0:1], 0x400, v[0:1]
	v_add_nc_u32_e32 v5, 0x1000, v5
	s_delay_alu instid0(VALU_DEP_2)
	v_cmp_le_i64_e32 vcc_lo, s[4:5], v[0:1]
	s_or_b32 s1, vcc_lo, s1
	s_wait_loadcnt_dscnt 0x0
	v_fmac_f32_e32 v6, v4, v7
	global_store_b32 v[2:3], v6, off
	s_wait_xcnt 0x0
	v_add_nc_u64_e32 v[2:3], s[2:3], v[2:3]
	s_and_not1_b32 exec_lo, exec_lo, s1
	s_cbranch_execnz .LBB13_19
.LBB13_20:
	s_endpgm
	.section	.rodata,"a",@progbits
	.p2align	6, 0x0
	.amdhsa_kernel _ZN9rocsolver6v33100L17larf_right_kernelILi1024EflPfEEvT1_S3_T2_lS3_lPKT0_lS4_lS3_l
		.amdhsa_group_segment_fixed_size 0
		.amdhsa_private_segment_fixed_size 0
		.amdhsa_kernarg_size 96
		.amdhsa_user_sgpr_count 2
		.amdhsa_user_sgpr_dispatch_ptr 0
		.amdhsa_user_sgpr_queue_ptr 0
		.amdhsa_user_sgpr_kernarg_segment_ptr 1
		.amdhsa_user_sgpr_dispatch_id 0
		.amdhsa_user_sgpr_kernarg_preload_length 0
		.amdhsa_user_sgpr_kernarg_preload_offset 0
		.amdhsa_user_sgpr_private_segment_size 0
		.amdhsa_wavefront_size32 1
		.amdhsa_uses_dynamic_stack 0
		.amdhsa_enable_private_segment 0
		.amdhsa_system_sgpr_workgroup_id_x 1
		.amdhsa_system_sgpr_workgroup_id_y 1
		.amdhsa_system_sgpr_workgroup_id_z 1
		.amdhsa_system_sgpr_workgroup_info 0
		.amdhsa_system_vgpr_workitem_id 0
		.amdhsa_next_free_vgpr 18
		.amdhsa_next_free_sgpr 40
		.amdhsa_named_barrier_count 0
		.amdhsa_reserve_vcc 1
		.amdhsa_float_round_mode_32 0
		.amdhsa_float_round_mode_16_64 0
		.amdhsa_float_denorm_mode_32 3
		.amdhsa_float_denorm_mode_16_64 3
		.amdhsa_fp16_overflow 0
		.amdhsa_memory_ordered 1
		.amdhsa_forward_progress 1
		.amdhsa_inst_pref_size 14
		.amdhsa_round_robin_scheduling 0
		.amdhsa_exception_fp_ieee_invalid_op 0
		.amdhsa_exception_fp_denorm_src 0
		.amdhsa_exception_fp_ieee_div_zero 0
		.amdhsa_exception_fp_ieee_overflow 0
		.amdhsa_exception_fp_ieee_underflow 0
		.amdhsa_exception_fp_ieee_inexact 0
		.amdhsa_exception_int_div_zero 0
	.end_amdhsa_kernel
	.section	.text._ZN9rocsolver6v33100L17larf_right_kernelILi1024EflPfEEvT1_S3_T2_lS3_lPKT0_lS4_lS3_l,"axG",@progbits,_ZN9rocsolver6v33100L17larf_right_kernelILi1024EflPfEEvT1_S3_T2_lS3_lPKT0_lS4_lS3_l,comdat
.Lfunc_end13:
	.size	_ZN9rocsolver6v33100L17larf_right_kernelILi1024EflPfEEvT1_S3_T2_lS3_lPKT0_lS4_lS3_l, .Lfunc_end13-_ZN9rocsolver6v33100L17larf_right_kernelILi1024EflPfEEvT1_S3_T2_lS3_lPKT0_lS4_lS3_l
                                        ; -- End function
	.set _ZN9rocsolver6v33100L17larf_right_kernelILi1024EflPfEEvT1_S3_T2_lS3_lPKT0_lS4_lS3_l.num_vgpr, 18
	.set _ZN9rocsolver6v33100L17larf_right_kernelILi1024EflPfEEvT1_S3_T2_lS3_lPKT0_lS4_lS3_l.num_agpr, 0
	.set _ZN9rocsolver6v33100L17larf_right_kernelILi1024EflPfEEvT1_S3_T2_lS3_lPKT0_lS4_lS3_l.numbered_sgpr, 40
	.set _ZN9rocsolver6v33100L17larf_right_kernelILi1024EflPfEEvT1_S3_T2_lS3_lPKT0_lS4_lS3_l.num_named_barrier, 0
	.set _ZN9rocsolver6v33100L17larf_right_kernelILi1024EflPfEEvT1_S3_T2_lS3_lPKT0_lS4_lS3_l.private_seg_size, 0
	.set _ZN9rocsolver6v33100L17larf_right_kernelILi1024EflPfEEvT1_S3_T2_lS3_lPKT0_lS4_lS3_l.uses_vcc, 1
	.set _ZN9rocsolver6v33100L17larf_right_kernelILi1024EflPfEEvT1_S3_T2_lS3_lPKT0_lS4_lS3_l.uses_flat_scratch, 0
	.set _ZN9rocsolver6v33100L17larf_right_kernelILi1024EflPfEEvT1_S3_T2_lS3_lPKT0_lS4_lS3_l.has_dyn_sized_stack, 0
	.set _ZN9rocsolver6v33100L17larf_right_kernelILi1024EflPfEEvT1_S3_T2_lS3_lPKT0_lS4_lS3_l.has_recursion, 0
	.set _ZN9rocsolver6v33100L17larf_right_kernelILi1024EflPfEEvT1_S3_T2_lS3_lPKT0_lS4_lS3_l.has_indirect_call, 0
	.section	.AMDGPU.csdata,"",@progbits
; Kernel info:
; codeLenInByte = 1692
; TotalNumSgprs: 42
; NumVgprs: 18
; ScratchSize: 0
; MemoryBound: 0
; FloatMode: 240
; IeeeMode: 1
; LDSByteSize: 0 bytes/workgroup (compile time only)
; SGPRBlocks: 0
; VGPRBlocks: 1
; NumSGPRsForWavesPerEU: 42
; NumVGPRsForWavesPerEU: 18
; NamedBarCnt: 0
; Occupancy: 16
; WaveLimiterHint : 0
; COMPUTE_PGM_RSRC2:SCRATCH_EN: 0
; COMPUTE_PGM_RSRC2:USER_SGPR: 2
; COMPUTE_PGM_RSRC2:TRAP_HANDLER: 0
; COMPUTE_PGM_RSRC2:TGID_X_EN: 1
; COMPUTE_PGM_RSRC2:TGID_Y_EN: 1
; COMPUTE_PGM_RSRC2:TGID_Z_EN: 1
; COMPUTE_PGM_RSRC2:TIDIG_COMP_CNT: 0
	.section	.text._ZN9rocsolver6v33100L16larf_left_kernelILi1024EdlPdEEvT1_S3_T2_lS3_lPKT0_lS4_lS3_l,"axG",@progbits,_ZN9rocsolver6v33100L16larf_left_kernelILi1024EdlPdEEvT1_S3_T2_lS3_lPKT0_lS4_lS3_l,comdat
	.globl	_ZN9rocsolver6v33100L16larf_left_kernelILi1024EdlPdEEvT1_S3_T2_lS3_lPKT0_lS4_lS3_l ; -- Begin function _ZN9rocsolver6v33100L16larf_left_kernelILi1024EdlPdEEvT1_S3_T2_lS3_lPKT0_lS4_lS3_l
	.p2align	8
	.type	_ZN9rocsolver6v33100L16larf_left_kernelILi1024EdlPdEEvT1_S3_T2_lS3_lPKT0_lS4_lS3_l,@function
_ZN9rocsolver6v33100L16larf_left_kernelILi1024EdlPdEEvT1_S3_T2_lS3_lPKT0_lS4_lS3_l: ; @_ZN9rocsolver6v33100L16larf_left_kernelILi1024EdlPdEEvT1_S3_T2_lS3_lPKT0_lS4_lS3_l
; %bb.0:
	s_clause 0x1
	s_load_b512 s[4:19], s[0:1], 0x10
	s_load_b64 s[2:3], s[0:1], 0x0
	s_mov_b64 s[26:27], 0
	s_wait_kmcnt 0x0
	v_cmp_gt_i64_e64 s20, s[8:9], 0
	s_and_b32 vcc_lo, exec_lo, s20
	s_cbranch_vccnz .LBB14_2
; %bb.1:
	s_sub_nc_u64 s[20:21], 1, s[2:3]
	s_delay_alu instid0(SALU_CYCLE_1)
	s_mul_u64 s[26:27], s[8:9], s[20:21]
.LBB14_2:
	s_load_b128 s[28:31], s[0:1], 0x50
	s_bfe_u32 s20, ttmp6, 0x40010
	s_and_b32 s22, ttmp7, 0xffff
	s_add_co_i32 s20, s20, 1
	v_dual_mov_b32 v1, 0 :: v_dual_lshlrev_b32 v2, 3, v0
	s_wait_xcnt 0x0
	s_mul_i32 s0, s22, s20
	s_bfe_u32 s20, ttmp6, 0x40014
	s_bfe_u32 s1, ttmp6, 0x40004
	s_lshr_b32 s23, ttmp7, 16
	s_add_co_i32 s20, s20, 1
	s_add_co_i32 s1, s1, s0
	s_mul_i32 s0, s23, s20
	s_bfe_u32 s20, ttmp6, 0x40008
	s_getreg_b32 s21, hwreg(HW_REG_IB_STS2, 6, 4)
	s_add_co_i32 s20, s20, s0
	v_cmp_gt_i64_e32 vcc_lo, s[2:3], v[0:1]
	v_mov_b64_e32 v[4:5], 0
	s_cmp_eq_u32 s21, 0
	s_mov_b32 s21, 0
	s_cselect_b32 s20, s23, s20
	s_cselect_b32 s0, s22, s1
	s_mov_b32 s1, s21
	s_wait_kmcnt 0x0
	s_mul_u64 s[22:23], s[30:31], s[20:21]
	s_mul_u64 s[24:25], s[28:29], s[0:1]
	s_and_saveexec_b32 s1, vcc_lo
	s_cbranch_execz .LBB14_8
; %bb.3:
	v_mul_u64_e32 v[4:5], s[8:9], v[0:1]
	s_lshl_b64 s[6:7], s[6:7], 3
	s_mul_u64 s[10:11], s[10:11], s[20:21]
	s_lshl_b64 s[26:27], s[26:27], 3
	s_add_nc_u64 s[4:5], s[4:5], s[6:7]
	v_add3_u32 v10, v2, 0, 0x100
	s_lshl_b64 s[6:7], s[10:11], 3
	s_add_nc_u64 s[4:5], s[4:5], s[26:27]
	v_mov_b64_e32 v[6:7], v[0:1]
	s_add_nc_u64 s[4:5], s[4:5], s[6:7]
	v_mov_b32_e32 v3, v10
	s_mov_b32 s6, s21
	s_delay_alu instid0(VALU_DEP_4)
	v_lshl_add_u64 v[4:5], v[4:5], 3, s[4:5]
	s_lshl_b64 s[4:5], s[8:9], 13
.LBB14_4:                               ; =>This Inner Loop Header: Depth=1
	global_load_b64 v[8:9], v[4:5], off
	v_add_nc_u64_e32 v[6:7], 0x400, v[6:7]
	s_wait_xcnt 0x0
	v_add_nc_u64_e32 v[4:5], s[4:5], v[4:5]
	s_delay_alu instid0(VALU_DEP_2)
	v_cmp_le_i64_e64 s0, s[2:3], v[6:7]
	s_or_b32 s6, s0, s6
	s_wait_loadcnt 0x0
	ds_store_b64 v3, v[8:9]
	v_add_nc_u32_e32 v3, 0x2000, v3
	s_and_not1_b32 exec_lo, exec_lo, s6
	s_cbranch_execnz .LBB14_4
; %bb.5:
	s_or_b32 exec_lo, exec_lo, s6
	s_lshl_b64 s[4:5], s[22:23], 3
	s_lshl_b64 s[6:7], s[24:25], 3
	v_mov_b32_e32 v3, 0
	s_add_nc_u64 s[4:5], s[4:5], s[6:7]
	s_lshl_b64 s[6:7], s[18:19], 3
	v_mov_b64_e32 v[4:5], 0
	s_add_nc_u64 s[4:5], s[4:5], s[6:7]
	v_mov_b64_e32 v[8:9], v[0:1]
	s_add_nc_u64 s[4:5], s[16:17], s[4:5]
	s_delay_alu instid0(SALU_CYCLE_1)
	v_add_nc_u64_e32 v[6:7], s[4:5], v[2:3]
	s_mov_b32 s4, 0
.LBB14_6:                               ; =>This Inner Loop Header: Depth=1
	global_load_b64 v[12:13], v[6:7], off
	ds_load_b64 v[14:15], v10
	v_add_nc_u64_e32 v[8:9], 0x400, v[8:9]
	s_wait_xcnt 0x0
	v_add_nc_u64_e32 v[6:7], 0x2000, v[6:7]
	v_add_nc_u32_e32 v10, 0x2000, v10
	s_delay_alu instid0(VALU_DEP_3)
	v_cmp_le_i64_e64 s0, s[2:3], v[8:9]
	s_or_b32 s4, s0, s4
	s_wait_loadcnt_dscnt 0x0
	v_fmac_f64_e32 v[4:5], v[12:13], v[14:15]
	s_and_not1_b32 exec_lo, exec_lo, s4
	s_cbranch_execnz .LBB14_6
; %bb.7:
	s_or_b32 exec_lo, exec_lo, s4
.LBB14_8:
	s_delay_alu instid0(SALU_CYCLE_1) | instskip(SKIP_2) | instid1(VALU_DEP_1)
	s_or_b32 exec_lo, exec_lo, s1
	v_mbcnt_lo_u32_b32 v3, -1, 0
	s_mov_b32 s1, exec_lo
	v_cmp_ne_u32_e64 s0, 31, v3
	s_delay_alu instid0(VALU_DEP_1) | instskip(SKIP_1) | instid1(VALU_DEP_2)
	v_add_co_ci_u32_e64 v6, null, 0, v3, s0
	v_cmp_gt_u32_e64 s0, 30, v3
	v_lshlrev_b32_e32 v7, 2, v6
	ds_bpermute_b32 v6, v7, v4
	ds_bpermute_b32 v7, v7, v5
	s_wait_dscnt 0x0
	v_add_f64_e32 v[4:5], v[4:5], v[6:7]
	v_cndmask_b32_e64 v6, 0, 2, s0
	v_cmp_gt_u32_e64 s0, 28, v3
	s_delay_alu instid0(VALU_DEP_2)
	v_add_lshl_u32 v7, v6, v3, 2
	ds_bpermute_b32 v6, v7, v4
	ds_bpermute_b32 v7, v7, v5
	s_wait_dscnt 0x0
	v_add_f64_e32 v[4:5], v[4:5], v[6:7]
	v_cndmask_b32_e64 v6, 0, 4, s0
	v_cmp_gt_u32_e64 s0, 24, v3
	s_delay_alu instid0(VALU_DEP_2)
	v_add_lshl_u32 v7, v6, v3, 2
	ds_bpermute_b32 v6, v7, v4
	ds_bpermute_b32 v7, v7, v5
	s_wait_dscnt 0x0
	v_add_f64_e32 v[4:5], v[4:5], v[6:7]
	v_cndmask_b32_e64 v6, 0, 8, s0
	s_delay_alu instid0(VALU_DEP_1)
	v_add_lshl_u32 v7, v6, v3, 2
	v_lshl_or_b32 v3, v3, 2, 64
	ds_bpermute_b32 v6, v7, v4
	ds_bpermute_b32 v7, v7, v5
	s_wait_dscnt 0x0
	v_add_f64_e32 v[4:5], v[4:5], v[6:7]
	ds_bpermute_b32 v6, v3, v4
	ds_bpermute_b32 v7, v3, v5
	s_wait_dscnt 0x0
	v_dual_add_f64 v[4:5], v[4:5], v[6:7] :: v_dual_bitop2_b32 v3, 31, v0 bitop3:0x40
	s_delay_alu instid0(VALU_DEP_1)
	v_cmpx_eq_u32_e32 0, v3
; %bb.9:
	v_lshrrev_b32_e32 v3, 2, v0
	s_delay_alu instid0(VALU_DEP_1)
	v_add_nc_u32_e32 v3, 0, v3
	ds_store_b64 v3, v[4:5]
; %bb.10:
	s_or_b32 exec_lo, exec_lo, s1
	s_delay_alu instid0(SALU_CYCLE_1)
	s_mov_b32 s1, exec_lo
	s_wait_dscnt 0x0
	s_barrier_signal -1
	s_barrier_wait -1
	v_cmpx_eq_u32_e32 0, v0
	s_cbranch_execz .LBB14_12
; %bb.11:
	v_mov_b32_e32 v3, 0
	ds_load_2addr_b64 v[6:9], v3 offset0:1 offset1:2
	ds_load_2addr_b64 v[10:13], v3 offset0:3 offset1:4
	s_wait_dscnt 0x1
	v_add_f64_e32 v[4:5], v[4:5], v[6:7]
	s_delay_alu instid0(VALU_DEP_1) | instskip(SKIP_1) | instid1(VALU_DEP_1)
	v_add_f64_e32 v[4:5], v[4:5], v[8:9]
	s_wait_dscnt 0x0
	v_add_f64_e32 v[4:5], v[4:5], v[10:11]
	s_delay_alu instid0(VALU_DEP_1) | instskip(SKIP_4) | instid1(VALU_DEP_1)
	v_add_f64_e32 v[12:13], v[4:5], v[12:13]
	ds_load_2addr_b64 v[4:7], v3 offset0:5 offset1:6
	ds_load_2addr_b64 v[8:11], v3 offset0:7 offset1:8
	s_wait_dscnt 0x1
	v_add_f64_e32 v[4:5], v[12:13], v[4:5]
	v_add_f64_e32 v[4:5], v[4:5], v[6:7]
	s_wait_dscnt 0x0
	s_delay_alu instid0(VALU_DEP_1) | instskip(NEXT) | instid1(VALU_DEP_1)
	v_add_f64_e32 v[4:5], v[4:5], v[8:9]
	v_add_f64_e32 v[12:13], v[4:5], v[10:11]
	ds_load_2addr_b64 v[4:7], v3 offset0:9 offset1:10
	ds_load_2addr_b64 v[8:11], v3 offset0:11 offset1:12
	s_wait_dscnt 0x1
	v_add_f64_e32 v[4:5], v[12:13], v[4:5]
	s_delay_alu instid0(VALU_DEP_1) | instskip(SKIP_1) | instid1(VALU_DEP_1)
	v_add_f64_e32 v[4:5], v[4:5], v[6:7]
	s_wait_dscnt 0x0
	v_add_f64_e32 v[4:5], v[4:5], v[8:9]
	s_delay_alu instid0(VALU_DEP_1) | instskip(SKIP_4) | instid1(VALU_DEP_1)
	v_add_f64_e32 v[12:13], v[4:5], v[10:11]
	ds_load_2addr_b64 v[4:7], v3 offset0:13 offset1:14
	ds_load_2addr_b64 v[8:11], v3 offset0:15 offset1:16
	s_wait_dscnt 0x1
	v_add_f64_e32 v[4:5], v[12:13], v[4:5]
	v_add_f64_e32 v[4:5], v[4:5], v[6:7]
	s_wait_dscnt 0x0
	s_delay_alu instid0(VALU_DEP_1) | instskip(NEXT) | instid1(VALU_DEP_1)
	v_add_f64_e32 v[4:5], v[4:5], v[8:9]
	v_add_f64_e32 v[12:13], v[4:5], v[10:11]
	;; [unrolled: 19-line block ×3, first 2 shown]
	ds_load_2addr_b64 v[4:7], v3 offset0:25 offset1:26
	ds_load_2addr_b64 v[8:11], v3 offset0:27 offset1:28
	s_wait_dscnt 0x1
	v_add_f64_e32 v[4:5], v[12:13], v[4:5]
	s_delay_alu instid0(VALU_DEP_1) | instskip(SKIP_1) | instid1(VALU_DEP_1)
	v_add_f64_e32 v[4:5], v[4:5], v[6:7]
	s_wait_dscnt 0x0
	v_add_f64_e32 v[4:5], v[4:5], v[8:9]
	s_delay_alu instid0(VALU_DEP_1) | instskip(SKIP_4) | instid1(VALU_DEP_1)
	v_add_f64_e32 v[8:9], v[4:5], v[10:11]
	ds_load_2addr_b64 v[4:7], v3 offset0:29 offset1:30
	ds_load_b64 v[10:11], v3 offset:248
	s_wait_dscnt 0x1
	v_add_f64_e32 v[4:5], v[8:9], v[4:5]
	v_add_f64_e32 v[4:5], v[4:5], v[6:7]
	s_wait_dscnt 0x0
	s_delay_alu instid0(VALU_DEP_1)
	v_add_f64_e32 v[4:5], v[4:5], v[10:11]
	ds_store_b64 v3, v[4:5]
.LBB14_12:
	s_or_b32 exec_lo, exec_lo, s1
	s_wait_dscnt 0x0
	s_barrier_signal -1
	s_barrier_wait -1
	s_and_saveexec_b32 s0, vcc_lo
	s_cbranch_execz .LBB14_15
; %bb.13:
	s_mul_u64 s[0:1], s[14:15], s[20:21]
	v_mov_b32_e32 v3, 0
	s_lshl_b64 s[0:1], s[0:1], 3
	s_lshl_b64 s[4:5], s[24:25], 3
	s_add_nc_u64 s[0:1], s[12:13], s[0:1]
	ds_load_b64 v[4:5], v3
	s_load_b64 s[0:1], s[0:1], 0x0
	s_wait_dscnt 0x0
	s_wait_kmcnt 0x0
	v_mul_f64_e64 v[4:5], v[4:5], -s[0:1]
	s_lshl_b64 s[0:1], s[22:23], 3
	s_delay_alu instid0(SALU_CYCLE_1) | instskip(SKIP_1) | instid1(SALU_CYCLE_1)
	s_add_nc_u64 s[0:1], s[0:1], s[4:5]
	s_lshl_b64 s[4:5], s[18:19], 3
	s_add_nc_u64 s[0:1], s[0:1], s[4:5]
	s_delay_alu instid0(SALU_CYCLE_1) | instskip(NEXT) | instid1(SALU_CYCLE_1)
	s_add_nc_u64 s[0:1], s[16:17], s[0:1]
	v_add_nc_u64_e32 v[6:7], s[0:1], v[2:3]
	v_add3_u32 v2, v2, 0, 0x100
	s_mov_b32 s0, 0
.LBB14_14:                              ; =>This Inner Loop Header: Depth=1
	global_load_b64 v[8:9], v[6:7], off
	ds_load_b64 v[10:11], v2
	v_add_nc_u64_e32 v[0:1], 0x400, v[0:1]
	v_add_nc_u32_e32 v2, 0x2000, v2
	s_delay_alu instid0(VALU_DEP_2)
	v_cmp_le_i64_e32 vcc_lo, s[2:3], v[0:1]
	s_or_b32 s0, vcc_lo, s0
	s_wait_loadcnt_dscnt 0x0
	v_fmac_f64_e32 v[8:9], v[4:5], v[10:11]
	global_store_b64 v[6:7], v[8:9], off
	s_wait_xcnt 0x0
	v_add_nc_u64_e32 v[6:7], 0x2000, v[6:7]
	s_and_not1_b32 exec_lo, exec_lo, s0
	s_cbranch_execnz .LBB14_14
.LBB14_15:
	s_endpgm
	.section	.rodata,"a",@progbits
	.p2align	6, 0x0
	.amdhsa_kernel _ZN9rocsolver6v33100L16larf_left_kernelILi1024EdlPdEEvT1_S3_T2_lS3_lPKT0_lS4_lS3_l
		.amdhsa_group_segment_fixed_size 0
		.amdhsa_private_segment_fixed_size 0
		.amdhsa_kernarg_size 96
		.amdhsa_user_sgpr_count 2
		.amdhsa_user_sgpr_dispatch_ptr 0
		.amdhsa_user_sgpr_queue_ptr 0
		.amdhsa_user_sgpr_kernarg_segment_ptr 1
		.amdhsa_user_sgpr_dispatch_id 0
		.amdhsa_user_sgpr_kernarg_preload_length 0
		.amdhsa_user_sgpr_kernarg_preload_offset 0
		.amdhsa_user_sgpr_private_segment_size 0
		.amdhsa_wavefront_size32 1
		.amdhsa_uses_dynamic_stack 0
		.amdhsa_enable_private_segment 0
		.amdhsa_system_sgpr_workgroup_id_x 1
		.amdhsa_system_sgpr_workgroup_id_y 1
		.amdhsa_system_sgpr_workgroup_id_z 1
		.amdhsa_system_sgpr_workgroup_info 0
		.amdhsa_system_vgpr_workitem_id 0
		.amdhsa_next_free_vgpr 16
		.amdhsa_next_free_sgpr 32
		.amdhsa_named_barrier_count 0
		.amdhsa_reserve_vcc 1
		.amdhsa_float_round_mode_32 0
		.amdhsa_float_round_mode_16_64 0
		.amdhsa_float_denorm_mode_32 3
		.amdhsa_float_denorm_mode_16_64 3
		.amdhsa_fp16_overflow 0
		.amdhsa_memory_ordered 1
		.amdhsa_forward_progress 1
		.amdhsa_inst_pref_size 11
		.amdhsa_round_robin_scheduling 0
		.amdhsa_exception_fp_ieee_invalid_op 0
		.amdhsa_exception_fp_denorm_src 0
		.amdhsa_exception_fp_ieee_div_zero 0
		.amdhsa_exception_fp_ieee_overflow 0
		.amdhsa_exception_fp_ieee_underflow 0
		.amdhsa_exception_fp_ieee_inexact 0
		.amdhsa_exception_int_div_zero 0
	.end_amdhsa_kernel
	.section	.text._ZN9rocsolver6v33100L16larf_left_kernelILi1024EdlPdEEvT1_S3_T2_lS3_lPKT0_lS4_lS3_l,"axG",@progbits,_ZN9rocsolver6v33100L16larf_left_kernelILi1024EdlPdEEvT1_S3_T2_lS3_lPKT0_lS4_lS3_l,comdat
.Lfunc_end14:
	.size	_ZN9rocsolver6v33100L16larf_left_kernelILi1024EdlPdEEvT1_S3_T2_lS3_lPKT0_lS4_lS3_l, .Lfunc_end14-_ZN9rocsolver6v33100L16larf_left_kernelILi1024EdlPdEEvT1_S3_T2_lS3_lPKT0_lS4_lS3_l
                                        ; -- End function
	.set _ZN9rocsolver6v33100L16larf_left_kernelILi1024EdlPdEEvT1_S3_T2_lS3_lPKT0_lS4_lS3_l.num_vgpr, 16
	.set _ZN9rocsolver6v33100L16larf_left_kernelILi1024EdlPdEEvT1_S3_T2_lS3_lPKT0_lS4_lS3_l.num_agpr, 0
	.set _ZN9rocsolver6v33100L16larf_left_kernelILi1024EdlPdEEvT1_S3_T2_lS3_lPKT0_lS4_lS3_l.numbered_sgpr, 32
	.set _ZN9rocsolver6v33100L16larf_left_kernelILi1024EdlPdEEvT1_S3_T2_lS3_lPKT0_lS4_lS3_l.num_named_barrier, 0
	.set _ZN9rocsolver6v33100L16larf_left_kernelILi1024EdlPdEEvT1_S3_T2_lS3_lPKT0_lS4_lS3_l.private_seg_size, 0
	.set _ZN9rocsolver6v33100L16larf_left_kernelILi1024EdlPdEEvT1_S3_T2_lS3_lPKT0_lS4_lS3_l.uses_vcc, 1
	.set _ZN9rocsolver6v33100L16larf_left_kernelILi1024EdlPdEEvT1_S3_T2_lS3_lPKT0_lS4_lS3_l.uses_flat_scratch, 0
	.set _ZN9rocsolver6v33100L16larf_left_kernelILi1024EdlPdEEvT1_S3_T2_lS3_lPKT0_lS4_lS3_l.has_dyn_sized_stack, 0
	.set _ZN9rocsolver6v33100L16larf_left_kernelILi1024EdlPdEEvT1_S3_T2_lS3_lPKT0_lS4_lS3_l.has_recursion, 0
	.set _ZN9rocsolver6v33100L16larf_left_kernelILi1024EdlPdEEvT1_S3_T2_lS3_lPKT0_lS4_lS3_l.has_indirect_call, 0
	.section	.AMDGPU.csdata,"",@progbits
; Kernel info:
; codeLenInByte = 1392
; TotalNumSgprs: 34
; NumVgprs: 16
; ScratchSize: 0
; MemoryBound: 0
; FloatMode: 240
; IeeeMode: 1
; LDSByteSize: 0 bytes/workgroup (compile time only)
; SGPRBlocks: 0
; VGPRBlocks: 0
; NumSGPRsForWavesPerEU: 34
; NumVGPRsForWavesPerEU: 16
; NamedBarCnt: 0
; Occupancy: 16
; WaveLimiterHint : 0
; COMPUTE_PGM_RSRC2:SCRATCH_EN: 0
; COMPUTE_PGM_RSRC2:USER_SGPR: 2
; COMPUTE_PGM_RSRC2:TRAP_HANDLER: 0
; COMPUTE_PGM_RSRC2:TGID_X_EN: 1
; COMPUTE_PGM_RSRC2:TGID_Y_EN: 1
; COMPUTE_PGM_RSRC2:TGID_Z_EN: 1
; COMPUTE_PGM_RSRC2:TIDIG_COMP_CNT: 0
	.section	.text._ZN9rocsolver6v33100L17larf_right_kernelILi1024EdlPdEEvT1_S3_T2_lS3_lPKT0_lS4_lS3_l,"axG",@progbits,_ZN9rocsolver6v33100L17larf_right_kernelILi1024EdlPdEEvT1_S3_T2_lS3_lPKT0_lS4_lS3_l,comdat
	.globl	_ZN9rocsolver6v33100L17larf_right_kernelILi1024EdlPdEEvT1_S3_T2_lS3_lPKT0_lS4_lS3_l ; -- Begin function _ZN9rocsolver6v33100L17larf_right_kernelILi1024EdlPdEEvT1_S3_T2_lS3_lPKT0_lS4_lS3_l
	.p2align	8
	.type	_ZN9rocsolver6v33100L17larf_right_kernelILi1024EdlPdEEvT1_S3_T2_lS3_lPKT0_lS4_lS3_l,@function
_ZN9rocsolver6v33100L17larf_right_kernelILi1024EdlPdEEvT1_S3_T2_lS3_lPKT0_lS4_lS3_l: ; @_ZN9rocsolver6v33100L17larf_right_kernelILi1024EdlPdEEvT1_S3_T2_lS3_lPKT0_lS4_lS3_l
; %bb.0:
	s_load_b512 s[4:19], s[0:1], 0x8
	s_mov_b64 s[26:27], 0
	s_wait_kmcnt 0x0
	v_cmp_gt_i64_e64 s2, s[10:11], 0
	s_and_b32 vcc_lo, exec_lo, s2
	s_cbranch_vccnz .LBB15_2
; %bb.1:
	s_sub_nc_u64 s[2:3], 1, s[4:5]
	s_delay_alu instid0(SALU_CYCLE_1)
	s_mul_u64 s[26:27], s[10:11], s[2:3]
.LBB15_2:
	s_clause 0x1
	s_load_b128 s[20:23], s[0:1], 0x48
	s_load_b64 s[24:25], s[0:1], 0x58
	s_wait_xcnt 0x0
	s_bfe_u32 s0, ttmp6, 0x40010
	s_bfe_u32 s2, ttmp6, 0x40014
	s_and_b32 s1, ttmp7, 0xffff
	s_add_co_i32 s0, s0, 1
	v_dual_mov_b32 v1, 0 :: v_dual_lshlrev_b32 v8, 3, v0
	s_lshr_b32 s28, ttmp7, 16
	s_add_co_i32 s2, s2, 1
	s_mul_i32 s0, s1, s0
	s_bfe_u32 s29, ttmp6, 0x40004
	s_mul_i32 s2, s28, s2
	s_bfe_u32 s30, ttmp6, 0x40008
	s_add_co_i32 s29, s29, s0
	s_getreg_b32 s0, hwreg(HW_REG_IB_STS2, 6, 4)
	s_add_co_i32 s30, s30, s2
	v_cmp_gt_i64_e32 vcc_lo, s[4:5], v[0:1]
	v_mov_b64_e32 v[2:3], 0
	s_cmp_eq_u32 s0, 0
	s_mov_b32 s3, 0
	s_cselect_b32 s2, s28, s30
	s_cselect_b32 s28, s1, s29
	s_wait_kmcnt 0x0
	s_mul_u64 s[24:25], s[24:25], s[2:3]
	s_and_saveexec_b32 s29, vcc_lo
	s_cbranch_execz .LBB15_8
; %bb.3:
	v_mul_u64_e32 v[2:3], s[10:11], v[0:1]
	s_lshl_b64 s[8:9], s[8:9], 3
	s_mul_u64 s[0:1], s[12:13], s[2:3]
	s_lshl_b64 s[12:13], s[26:27], 3
	s_add_nc_u64 s[6:7], s[6:7], s[8:9]
	v_add3_u32 v9, v8, 0, 0x100
	s_lshl_b64 s[0:1], s[0:1], 3
	s_add_nc_u64 s[6:7], s[6:7], s[12:13]
	v_mov_b64_e32 v[4:5], v[0:1]
	s_add_nc_u64 s[0:1], s[6:7], s[0:1]
	v_mov_b32_e32 v6, v9
	s_lshl_b64 s[6:7], s[10:11], 13
	s_delay_alu instid0(VALU_DEP_4)
	v_lshl_add_u64 v[2:3], v[2:3], 3, s[0:1]
	s_mov_b32 s1, s3
.LBB15_4:                               ; =>This Inner Loop Header: Depth=1
	global_load_b64 v[10:11], v[2:3], off
	v_add_nc_u64_e32 v[4:5], 0x400, v[4:5]
	s_wait_xcnt 0x0
	v_add_nc_u64_e32 v[2:3], s[6:7], v[2:3]
	s_delay_alu instid0(VALU_DEP_2)
	v_cmp_le_i64_e64 s0, s[4:5], v[4:5]
	s_or_b32 s1, s0, s1
	s_wait_loadcnt 0x0
	ds_store_b64 v6, v[10:11]
	v_add_nc_u32_e32 v6, 0x2000, v6
	s_and_not1_b32 exec_lo, exec_lo, s1
	s_cbranch_execnz .LBB15_4
; %bb.5:
	s_or_b32 exec_lo, exec_lo, s1
	v_mul_u64_e32 v[4:5], s[22:23], v[0:1]
	s_lshl_b32 s0, s28, 3
	s_mov_b32 s1, 0
	s_lshl_b64 s[6:7], s[20:21], 3
	s_add_nc_u64 s[8:9], s[18:19], s[0:1]
	s_lshl_b64 s[10:11], s[24:25], 3
	s_add_nc_u64 s[6:7], s[8:9], s[6:7]
	v_mov_b64_e32 v[2:3], 0
	s_add_nc_u64 s[6:7], s[6:7], s[10:11]
	v_mov_b64_e32 v[6:7], v[0:1]
	s_delay_alu instid0(VALU_DEP_3)
	v_lshl_add_u64 v[4:5], v[4:5], 3, s[6:7]
	s_lshl_b64 s[6:7], s[22:23], 13
.LBB15_6:                               ; =>This Inner Loop Header: Depth=1
	global_load_b64 v[10:11], v[4:5], off
	ds_load_b64 v[12:13], v9
	v_add_nc_u64_e32 v[6:7], 0x400, v[6:7]
	s_wait_xcnt 0x0
	v_add_nc_u64_e32 v[4:5], s[6:7], v[4:5]
	v_add_nc_u32_e32 v9, 0x2000, v9
	s_delay_alu instid0(VALU_DEP_3)
	v_cmp_le_i64_e64 s0, s[4:5], v[6:7]
	s_or_b32 s1, s0, s1
	s_wait_loadcnt_dscnt 0x0
	v_fmac_f64_e32 v[2:3], v[10:11], v[12:13]
	s_and_not1_b32 exec_lo, exec_lo, s1
	s_cbranch_execnz .LBB15_6
; %bb.7:
	s_or_b32 exec_lo, exec_lo, s1
.LBB15_8:
	s_delay_alu instid0(SALU_CYCLE_1) | instskip(SKIP_2) | instid1(VALU_DEP_1)
	s_or_b32 exec_lo, exec_lo, s29
	v_mbcnt_lo_u32_b32 v6, -1, 0
	s_mov_b32 s1, exec_lo
	v_cmp_ne_u32_e64 s0, 31, v6
	s_delay_alu instid0(VALU_DEP_1) | instskip(SKIP_1) | instid1(VALU_DEP_2)
	v_add_co_ci_u32_e64 v4, null, 0, v6, s0
	v_cmp_gt_u32_e64 s0, 30, v6
	v_lshlrev_b32_e32 v5, 2, v4
	ds_bpermute_b32 v4, v5, v2
	ds_bpermute_b32 v5, v5, v3
	s_wait_dscnt 0x0
	v_add_f64_e32 v[2:3], v[2:3], v[4:5]
	v_cndmask_b32_e64 v4, 0, 2, s0
	v_cmp_gt_u32_e64 s0, 28, v6
	s_delay_alu instid0(VALU_DEP_2)
	v_add_lshl_u32 v5, v4, v6, 2
	ds_bpermute_b32 v4, v5, v2
	ds_bpermute_b32 v5, v5, v3
	s_wait_dscnt 0x0
	v_add_f64_e32 v[2:3], v[2:3], v[4:5]
	v_cndmask_b32_e64 v4, 0, 4, s0
	v_cmp_gt_u32_e64 s0, 24, v6
	s_delay_alu instid0(VALU_DEP_2)
	v_add_lshl_u32 v5, v4, v6, 2
	ds_bpermute_b32 v4, v5, v2
	ds_bpermute_b32 v5, v5, v3
	s_wait_dscnt 0x0
	v_add_f64_e32 v[2:3], v[2:3], v[4:5]
	v_cndmask_b32_e64 v4, 0, 8, s0
	s_delay_alu instid0(VALU_DEP_1)
	v_add_lshl_u32 v5, v4, v6, 2
	ds_bpermute_b32 v4, v5, v2
	ds_bpermute_b32 v5, v5, v3
	s_wait_dscnt 0x0
	v_add_f64_e32 v[2:3], v[2:3], v[4:5]
	v_lshl_or_b32 v5, v6, 2, 64
	ds_bpermute_b32 v4, v5, v2
	ds_bpermute_b32 v5, v5, v3
	s_wait_dscnt 0x0
	v_add_f64_e32 v[2:3], v[2:3], v[4:5]
	v_and_b32_e32 v4, 31, v0
	s_delay_alu instid0(VALU_DEP_1)
	v_cmpx_eq_u32_e32 0, v4
; %bb.9:
	v_lshrrev_b32_e32 v4, 2, v0
	s_delay_alu instid0(VALU_DEP_1)
	v_add_nc_u32_e32 v4, 0, v4
	ds_store_b64 v4, v[2:3]
; %bb.10:
	s_or_b32 exec_lo, exec_lo, s1
	s_delay_alu instid0(SALU_CYCLE_1)
	s_mov_b32 s1, exec_lo
	s_wait_dscnt 0x0
	s_barrier_signal -1
	s_barrier_wait -1
	v_cmpx_eq_u32_e32 0, v0
	s_cbranch_execz .LBB15_12
; %bb.11:
	v_mov_b32_e32 v9, 0
	ds_load_2addr_b64 v[4:7], v9 offset0:1 offset1:2
	ds_load_2addr_b64 v[10:13], v9 offset0:3 offset1:4
	s_wait_dscnt 0x1
	v_add_f64_e32 v[2:3], v[2:3], v[4:5]
	s_delay_alu instid0(VALU_DEP_1) | instskip(SKIP_1) | instid1(VALU_DEP_1)
	v_add_f64_e32 v[2:3], v[2:3], v[6:7]
	s_wait_dscnt 0x0
	v_add_f64_e32 v[2:3], v[2:3], v[10:11]
	s_delay_alu instid0(VALU_DEP_1) | instskip(SKIP_4) | instid1(VALU_DEP_1)
	v_add_f64_e32 v[6:7], v[2:3], v[12:13]
	ds_load_2addr_b64 v[2:5], v9 offset0:5 offset1:6
	ds_load_2addr_b64 v[10:13], v9 offset0:7 offset1:8
	s_wait_dscnt 0x1
	v_add_f64_e32 v[2:3], v[6:7], v[2:3]
	v_add_f64_e32 v[2:3], v[2:3], v[4:5]
	s_wait_dscnt 0x0
	s_delay_alu instid0(VALU_DEP_1) | instskip(NEXT) | instid1(VALU_DEP_1)
	v_add_f64_e32 v[2:3], v[2:3], v[10:11]
	v_add_f64_e32 v[6:7], v[2:3], v[12:13]
	ds_load_2addr_b64 v[2:5], v9 offset0:9 offset1:10
	ds_load_2addr_b64 v[10:13], v9 offset0:11 offset1:12
	s_wait_dscnt 0x1
	v_add_f64_e32 v[2:3], v[6:7], v[2:3]
	s_delay_alu instid0(VALU_DEP_1) | instskip(SKIP_1) | instid1(VALU_DEP_1)
	v_add_f64_e32 v[2:3], v[2:3], v[4:5]
	s_wait_dscnt 0x0
	v_add_f64_e32 v[2:3], v[2:3], v[10:11]
	s_delay_alu instid0(VALU_DEP_1) | instskip(SKIP_4) | instid1(VALU_DEP_1)
	v_add_f64_e32 v[6:7], v[2:3], v[12:13]
	ds_load_2addr_b64 v[2:5], v9 offset0:13 offset1:14
	ds_load_2addr_b64 v[10:13], v9 offset0:15 offset1:16
	s_wait_dscnt 0x1
	v_add_f64_e32 v[2:3], v[6:7], v[2:3]
	v_add_f64_e32 v[2:3], v[2:3], v[4:5]
	s_wait_dscnt 0x0
	s_delay_alu instid0(VALU_DEP_1) | instskip(NEXT) | instid1(VALU_DEP_1)
	v_add_f64_e32 v[2:3], v[2:3], v[10:11]
	v_add_f64_e32 v[6:7], v[2:3], v[12:13]
	;; [unrolled: 19-line block ×3, first 2 shown]
	ds_load_2addr_b64 v[2:5], v9 offset0:25 offset1:26
	ds_load_2addr_b64 v[10:13], v9 offset0:27 offset1:28
	s_wait_dscnt 0x1
	v_add_f64_e32 v[2:3], v[6:7], v[2:3]
	s_delay_alu instid0(VALU_DEP_1) | instskip(SKIP_1) | instid1(VALU_DEP_1)
	v_add_f64_e32 v[2:3], v[2:3], v[4:5]
	s_wait_dscnt 0x0
	v_add_f64_e32 v[2:3], v[2:3], v[10:11]
	s_delay_alu instid0(VALU_DEP_1) | instskip(SKIP_4) | instid1(VALU_DEP_1)
	v_add_f64_e32 v[6:7], v[2:3], v[12:13]
	ds_load_2addr_b64 v[2:5], v9 offset0:29 offset1:30
	ds_load_b64 v[10:11], v9 offset:248
	s_wait_dscnt 0x1
	v_add_f64_e32 v[2:3], v[6:7], v[2:3]
	v_add_f64_e32 v[2:3], v[2:3], v[4:5]
	s_wait_dscnt 0x0
	s_delay_alu instid0(VALU_DEP_1)
	v_add_f64_e32 v[2:3], v[2:3], v[10:11]
	ds_store_b64 v9, v[2:3]
.LBB15_12:
	s_or_b32 exec_lo, exec_lo, s1
	s_wait_dscnt 0x0
	s_barrier_signal -1
	s_barrier_wait -1
	s_and_saveexec_b32 s0, vcc_lo
	s_cbranch_execz .LBB15_15
; %bb.13:
	s_mul_u64 s[0:1], s[16:17], s[2:3]
	v_mov_b32_e32 v2, 0
	s_lshl_b64 s[0:1], s[0:1], 3
	v_mul_u64_e32 v[4:5], s[22:23], v[0:1]
	s_add_nc_u64 s[0:1], s[14:15], s[0:1]
	s_lshl_b64 s[2:3], s[20:21], 3
	s_load_b64 s[0:1], s[0:1], 0x0
	ds_load_b64 v[2:3], v2
	s_lshl_b64 s[8:9], s[24:25], 3
	v_add3_u32 v6, v8, 0, 0x100
	s_wait_dscnt 0x0
	s_wait_kmcnt 0x0
	v_mul_f64_e64 v[2:3], v[2:3], -s[0:1]
	s_mov_b32 s1, 0
	s_lshl_b32 s0, s28, 3
	s_delay_alu instid0(SALU_CYCLE_1) | instskip(NEXT) | instid1(SALU_CYCLE_1)
	s_add_nc_u64 s[6:7], s[18:19], s[0:1]
	s_add_nc_u64 s[2:3], s[6:7], s[2:3]
	s_delay_alu instid0(SALU_CYCLE_1) | instskip(NEXT) | instid1(SALU_CYCLE_1)
	s_add_nc_u64 s[2:3], s[2:3], s[8:9]
	v_lshl_add_u64 v[4:5], v[4:5], 3, s[2:3]
	s_lshl_b64 s[2:3], s[22:23], 13
.LBB15_14:                              ; =>This Inner Loop Header: Depth=1
	global_load_b64 v[8:9], v[4:5], off
	ds_load_b64 v[10:11], v6
	v_add_nc_u64_e32 v[0:1], 0x400, v[0:1]
	v_add_nc_u32_e32 v6, 0x2000, v6
	s_delay_alu instid0(VALU_DEP_2)
	v_cmp_le_i64_e32 vcc_lo, s[4:5], v[0:1]
	s_or_b32 s1, vcc_lo, s1
	s_wait_loadcnt_dscnt 0x0
	v_fmac_f64_e32 v[8:9], v[2:3], v[10:11]
	global_store_b64 v[4:5], v[8:9], off
	s_wait_xcnt 0x0
	v_add_nc_u64_e32 v[4:5], s[2:3], v[4:5]
	s_and_not1_b32 exec_lo, exec_lo, s1
	s_cbranch_execnz .LBB15_14
.LBB15_15:
	s_endpgm
	.section	.rodata,"a",@progbits
	.p2align	6, 0x0
	.amdhsa_kernel _ZN9rocsolver6v33100L17larf_right_kernelILi1024EdlPdEEvT1_S3_T2_lS3_lPKT0_lS4_lS3_l
		.amdhsa_group_segment_fixed_size 0
		.amdhsa_private_segment_fixed_size 0
		.amdhsa_kernarg_size 96
		.amdhsa_user_sgpr_count 2
		.amdhsa_user_sgpr_dispatch_ptr 0
		.amdhsa_user_sgpr_queue_ptr 0
		.amdhsa_user_sgpr_kernarg_segment_ptr 1
		.amdhsa_user_sgpr_dispatch_id 0
		.amdhsa_user_sgpr_kernarg_preload_length 0
		.amdhsa_user_sgpr_kernarg_preload_offset 0
		.amdhsa_user_sgpr_private_segment_size 0
		.amdhsa_wavefront_size32 1
		.amdhsa_uses_dynamic_stack 0
		.amdhsa_enable_private_segment 0
		.amdhsa_system_sgpr_workgroup_id_x 1
		.amdhsa_system_sgpr_workgroup_id_y 1
		.amdhsa_system_sgpr_workgroup_id_z 1
		.amdhsa_system_sgpr_workgroup_info 0
		.amdhsa_system_vgpr_workitem_id 0
		.amdhsa_next_free_vgpr 14
		.amdhsa_next_free_sgpr 31
		.amdhsa_named_barrier_count 0
		.amdhsa_reserve_vcc 1
		.amdhsa_float_round_mode_32 0
		.amdhsa_float_round_mode_16_64 0
		.amdhsa_float_denorm_mode_32 3
		.amdhsa_float_denorm_mode_16_64 3
		.amdhsa_fp16_overflow 0
		.amdhsa_memory_ordered 1
		.amdhsa_forward_progress 1
		.amdhsa_inst_pref_size 11
		.amdhsa_round_robin_scheduling 0
		.amdhsa_exception_fp_ieee_invalid_op 0
		.amdhsa_exception_fp_denorm_src 0
		.amdhsa_exception_fp_ieee_div_zero 0
		.amdhsa_exception_fp_ieee_overflow 0
		.amdhsa_exception_fp_ieee_underflow 0
		.amdhsa_exception_fp_ieee_inexact 0
		.amdhsa_exception_int_div_zero 0
	.end_amdhsa_kernel
	.section	.text._ZN9rocsolver6v33100L17larf_right_kernelILi1024EdlPdEEvT1_S3_T2_lS3_lPKT0_lS4_lS3_l,"axG",@progbits,_ZN9rocsolver6v33100L17larf_right_kernelILi1024EdlPdEEvT1_S3_T2_lS3_lPKT0_lS4_lS3_l,comdat
.Lfunc_end15:
	.size	_ZN9rocsolver6v33100L17larf_right_kernelILi1024EdlPdEEvT1_S3_T2_lS3_lPKT0_lS4_lS3_l, .Lfunc_end15-_ZN9rocsolver6v33100L17larf_right_kernelILi1024EdlPdEEvT1_S3_T2_lS3_lPKT0_lS4_lS3_l
                                        ; -- End function
	.set _ZN9rocsolver6v33100L17larf_right_kernelILi1024EdlPdEEvT1_S3_T2_lS3_lPKT0_lS4_lS3_l.num_vgpr, 14
	.set _ZN9rocsolver6v33100L17larf_right_kernelILi1024EdlPdEEvT1_S3_T2_lS3_lPKT0_lS4_lS3_l.num_agpr, 0
	.set _ZN9rocsolver6v33100L17larf_right_kernelILi1024EdlPdEEvT1_S3_T2_lS3_lPKT0_lS4_lS3_l.numbered_sgpr, 31
	.set _ZN9rocsolver6v33100L17larf_right_kernelILi1024EdlPdEEvT1_S3_T2_lS3_lPKT0_lS4_lS3_l.num_named_barrier, 0
	.set _ZN9rocsolver6v33100L17larf_right_kernelILi1024EdlPdEEvT1_S3_T2_lS3_lPKT0_lS4_lS3_l.private_seg_size, 0
	.set _ZN9rocsolver6v33100L17larf_right_kernelILi1024EdlPdEEvT1_S3_T2_lS3_lPKT0_lS4_lS3_l.uses_vcc, 1
	.set _ZN9rocsolver6v33100L17larf_right_kernelILi1024EdlPdEEvT1_S3_T2_lS3_lPKT0_lS4_lS3_l.uses_flat_scratch, 0
	.set _ZN9rocsolver6v33100L17larf_right_kernelILi1024EdlPdEEvT1_S3_T2_lS3_lPKT0_lS4_lS3_l.has_dyn_sized_stack, 0
	.set _ZN9rocsolver6v33100L17larf_right_kernelILi1024EdlPdEEvT1_S3_T2_lS3_lPKT0_lS4_lS3_l.has_recursion, 0
	.set _ZN9rocsolver6v33100L17larf_right_kernelILi1024EdlPdEEvT1_S3_T2_lS3_lPKT0_lS4_lS3_l.has_indirect_call, 0
	.section	.AMDGPU.csdata,"",@progbits
; Kernel info:
; codeLenInByte = 1392
; TotalNumSgprs: 33
; NumVgprs: 14
; ScratchSize: 0
; MemoryBound: 0
; FloatMode: 240
; IeeeMode: 1
; LDSByteSize: 0 bytes/workgroup (compile time only)
; SGPRBlocks: 0
; VGPRBlocks: 0
; NumSGPRsForWavesPerEU: 33
; NumVGPRsForWavesPerEU: 14
; NamedBarCnt: 0
; Occupancy: 16
; WaveLimiterHint : 0
; COMPUTE_PGM_RSRC2:SCRATCH_EN: 0
; COMPUTE_PGM_RSRC2:USER_SGPR: 2
; COMPUTE_PGM_RSRC2:TRAP_HANDLER: 0
; COMPUTE_PGM_RSRC2:TGID_X_EN: 1
; COMPUTE_PGM_RSRC2:TGID_Y_EN: 1
; COMPUTE_PGM_RSRC2:TGID_Z_EN: 1
; COMPUTE_PGM_RSRC2:TIDIG_COMP_CNT: 0
	.section	.text._ZN9rocsolver6v33100L16larf_left_kernelILi1024E19rocblas_complex_numIfElPS3_EEvT1_S5_T2_lS5_lPKT0_lS6_lS5_l,"axG",@progbits,_ZN9rocsolver6v33100L16larf_left_kernelILi1024E19rocblas_complex_numIfElPS3_EEvT1_S5_T2_lS5_lPKT0_lS6_lS5_l,comdat
	.globl	_ZN9rocsolver6v33100L16larf_left_kernelILi1024E19rocblas_complex_numIfElPS3_EEvT1_S5_T2_lS5_lPKT0_lS6_lS5_l ; -- Begin function _ZN9rocsolver6v33100L16larf_left_kernelILi1024E19rocblas_complex_numIfElPS3_EEvT1_S5_T2_lS5_lPKT0_lS6_lS5_l
	.p2align	8
	.type	_ZN9rocsolver6v33100L16larf_left_kernelILi1024E19rocblas_complex_numIfElPS3_EEvT1_S5_T2_lS5_lPKT0_lS6_lS5_l,@function
_ZN9rocsolver6v33100L16larf_left_kernelILi1024E19rocblas_complex_numIfElPS3_EEvT1_S5_T2_lS5_lPKT0_lS6_lS5_l: ; @_ZN9rocsolver6v33100L16larf_left_kernelILi1024E19rocblas_complex_numIfElPS3_EEvT1_S5_T2_lS5_lPKT0_lS6_lS5_l
; %bb.0:
	s_clause 0x1
	s_load_b512 s[4:19], s[0:1], 0x10
	s_load_b64 s[2:3], s[0:1], 0x0
	s_mov_b64 s[26:27], 0
	s_wait_kmcnt 0x0
	v_cmp_gt_i64_e64 s20, s[8:9], 0
	s_and_b32 vcc_lo, exec_lo, s20
	s_cbranch_vccnz .LBB16_2
; %bb.1:
	s_sub_nc_u64 s[20:21], 1, s[2:3]
	s_delay_alu instid0(SALU_CYCLE_1)
	s_mul_u64 s[26:27], s[8:9], s[20:21]
.LBB16_2:
	s_load_b128 s[28:31], s[0:1], 0x50
	s_bfe_u32 s20, ttmp6, 0x40010
	s_and_b32 s21, ttmp7, 0xffff
	s_add_co_i32 s20, s20, 1
	s_wait_xcnt 0x0
	s_bfe_u32 s1, ttmp6, 0x40014
	v_mov_b32_e32 v1, 0
	s_mul_i32 s0, s21, s20
	s_lshr_b32 s20, ttmp7, 16
	s_add_co_i32 s1, s1, 1
	s_bfe_u32 s22, ttmp6, 0x40004
	s_mul_i32 s1, s20, s1
	s_bfe_u32 s23, ttmp6, 0x40008
	s_add_co_i32 s22, s22, s0
	s_getreg_b32 s0, hwreg(HW_REG_IB_STS2, 6, 4)
	s_add_co_i32 s23, s23, s1
	v_cmp_gt_i64_e32 vcc_lo, s[2:3], v[0:1]
	s_cmp_eq_u32 s0, 0
	s_mov_b32 s25, 0
	v_dual_mov_b32 v3, v1 :: v_dual_mov_b32 v2, v1
	s_cselect_b32 s24, s20, s23
	s_cselect_b32 s0, s21, s22
	s_mov_b32 s1, s25
	s_wait_kmcnt 0x0
	s_mul_u64 s[20:21], s[30:31], s[24:25]
	s_mul_u64 s[22:23], s[28:29], s[0:1]
	s_and_saveexec_b32 s1, vcc_lo
	s_cbranch_execz .LBB16_8
; %bb.3:
	v_mul_u64_e32 v[4:5], s[8:9], v[0:1]
	v_lshlrev_b32_e32 v2, 3, v0
	s_lshl_b64 s[6:7], s[6:7], 3
	s_mul_u64 s[10:11], s[10:11], s[24:25]
	s_lshl_b64 s[26:27], s[26:27], 3
	s_add_nc_u64 s[4:5], s[4:5], s[6:7]
	v_add3_u32 v8, v2, 0, 0x100
	s_lshl_b64 s[6:7], s[10:11], 3
	s_add_nc_u64 s[4:5], s[4:5], s[26:27]
	v_mov_b64_e32 v[6:7], v[0:1]
	s_add_nc_u64 s[4:5], s[4:5], s[6:7]
	v_mov_b32_e32 v3, v8
	s_mov_b32 s6, s25
	v_lshl_add_u64 v[4:5], v[4:5], 3, s[4:5]
	s_lshl_b64 s[4:5], s[8:9], 13
.LBB16_4:                               ; =>This Inner Loop Header: Depth=1
	global_load_b64 v[10:11], v[4:5], off
	v_add_nc_u64_e32 v[6:7], 0x400, v[6:7]
	s_wait_xcnt 0x0
	v_add_nc_u64_e32 v[4:5], s[4:5], v[4:5]
	s_delay_alu instid0(VALU_DEP_2)
	v_cmp_le_i64_e64 s0, s[2:3], v[6:7]
	s_or_b32 s6, s0, s6
	s_wait_loadcnt 0x0
	ds_store_b64 v3, v[10:11]
	v_add_nc_u32_e32 v3, 0x2000, v3
	s_and_not1_b32 exec_lo, exec_lo, s6
	s_cbranch_execnz .LBB16_4
; %bb.5:
	s_or_b32 exec_lo, exec_lo, s6
	s_lshl_b64 s[4:5], s[20:21], 3
	s_lshl_b64 s[6:7], s[22:23], 3
	v_mov_b32_e32 v3, 0
	s_add_nc_u64 s[4:5], s[4:5], s[6:7]
	s_lshl_b64 s[6:7], s[18:19], 3
	v_mov_b64_e32 v[6:7], v[0:1]
	s_add_nc_u64 s[4:5], s[4:5], s[6:7]
	s_delay_alu instid0(SALU_CYCLE_1) | instskip(NEXT) | instid1(SALU_CYCLE_1)
	s_add_nc_u64 s[4:5], s[16:17], s[4:5]
	v_add_nc_u64_e32 v[4:5], s[4:5], v[2:3]
	v_mov_b32_e32 v2, v3
	s_mov_b32 s4, 0
	s_delay_alu instid0(VALU_DEP_2)
	v_add_nc_u64_e32 v[4:5], 4, v[4:5]
.LBB16_6:                               ; =>This Inner Loop Header: Depth=1
	global_load_b64 v[10:11], v[4:5], off offset:-4
	ds_load_b64 v[12:13], v8
	v_add_nc_u64_e32 v[6:7], 0x400, v[6:7]
	s_wait_xcnt 0x0
	v_add_nc_u64_e32 v[4:5], 0x2000, v[4:5]
	v_add_nc_u32_e32 v8, 0x2000, v8
	s_delay_alu instid0(VALU_DEP_3) | instskip(SKIP_3) | instid1(VALU_DEP_1)
	v_cmp_le_i64_e64 s0, s[2:3], v[6:7]
	s_or_b32 s4, s0, s4
	s_wait_loadcnt_dscnt 0x0
	v_pk_mul_f32 v[14:15], v[10:11], v[12:13] op_sel:[1,1] op_sel_hi:[1,0]
	v_pk_fma_f32 v[16:17], v[10:11], v[12:13], v[14:15] op_sel_hi:[0,1,1] neg_lo:[0,0,1] neg_hi:[0,0,1]
	v_pk_fma_f32 v[10:11], v[10:11], v[12:13], v[14:15]
	s_delay_alu instid0(VALU_DEP_2) | instskip(NEXT) | instid1(VALU_DEP_1)
	v_mov_b32_e32 v11, v17
	v_pk_add_f32 v[2:3], v[2:3], v[10:11]
	s_and_not1_b32 exec_lo, exec_lo, s4
	s_cbranch_execnz .LBB16_6
; %bb.7:
	s_or_b32 exec_lo, exec_lo, s4
.LBB16_8:
	s_delay_alu instid0(SALU_CYCLE_1) | instskip(SKIP_2) | instid1(VALU_DEP_1)
	s_or_b32 exec_lo, exec_lo, s1
	v_mbcnt_lo_u32_b32 v6, -1, 0
	s_mov_b32 s1, exec_lo
	v_cmp_ne_u32_e64 s0, 31, v6
	s_delay_alu instid0(VALU_DEP_1) | instskip(SKIP_1) | instid1(VALU_DEP_2)
	v_add_co_ci_u32_e64 v4, null, 0, v6, s0
	v_cmp_gt_u32_e64 s0, 30, v6
	v_lshlrev_b32_e32 v5, 2, v4
	s_delay_alu instid0(VALU_DEP_2)
	v_cndmask_b32_e64 v7, 0, 2, s0
	v_cmp_gt_u32_e64 s0, 28, v6
	ds_bpermute_b32 v4, v5, v2
	ds_bpermute_b32 v5, v5, v3
	v_add_lshl_u32 v7, v7, v6, 2
	s_wait_dscnt 0x0
	v_pk_add_f32 v[2:3], v[2:3], v[4:5]
	ds_bpermute_b32 v4, v7, v2
	ds_bpermute_b32 v5, v7, v3
	v_cndmask_b32_e64 v7, 0, 4, s0
	v_cmp_gt_u32_e64 s0, 24, v6
	s_delay_alu instid0(VALU_DEP_2)
	v_add_lshl_u32 v7, v7, v6, 2
	s_wait_dscnt 0x0
	v_pk_add_f32 v[2:3], v[2:3], v[4:5]
	ds_bpermute_b32 v4, v7, v2
	ds_bpermute_b32 v5, v7, v3
	v_cndmask_b32_e64 v7, 0, 8, s0
	s_delay_alu instid0(VALU_DEP_1)
	v_add_lshl_u32 v7, v7, v6, 2
	v_lshl_or_b32 v6, v6, 2, 64
	s_wait_dscnt 0x0
	v_pk_add_f32 v[2:3], v[2:3], v[4:5]
	ds_bpermute_b32 v4, v7, v2
	ds_bpermute_b32 v5, v7, v3
	s_wait_dscnt 0x0
	v_pk_add_f32 v[2:3], v[2:3], v[4:5]
	ds_bpermute_b32 v4, v6, v2
	ds_bpermute_b32 v5, v6, v3
	v_and_b32_e32 v6, 31, v0
	s_wait_dscnt 0x0
	v_pk_add_f32 v[2:3], v[2:3], v[4:5]
	s_delay_alu instid0(VALU_DEP_2)
	v_cmpx_eq_u32_e32 0, v6
; %bb.9:
	v_lshrrev_b32_e32 v4, 2, v0
	s_delay_alu instid0(VALU_DEP_1)
	v_add_nc_u32_e32 v4, 0, v4
	ds_store_2addr_b32 v4, v2, v3 offset1:1
; %bb.10:
	s_or_b32 exec_lo, exec_lo, s1
	s_delay_alu instid0(SALU_CYCLE_1)
	s_mov_b32 s1, exec_lo
	s_wait_dscnt 0x0
	s_barrier_signal -1
	s_barrier_wait -1
	v_cmpx_eq_u32_e32 0, v0
	s_cbranch_execz .LBB16_12
; %bb.11:
	v_mov_b32_e32 v16, 0
	ds_load_2addr_b64 v[4:7], v16 offset0:1 offset1:2
	ds_load_2addr_b64 v[8:11], v16 offset0:3 offset1:4
	;; [unrolled: 1-line block ×3, first 2 shown]
	s_wait_dscnt 0x2
	v_pk_add_f32 v[2:3], v[2:3], v[4:5]
	s_delay_alu instid0(VALU_DEP_1) | instskip(SKIP_3) | instid1(VALU_DEP_1)
	v_pk_add_f32 v[6:7], v[2:3], v[6:7]
	ds_load_2addr_b64 v[2:5], v16 offset0:7 offset1:8
	s_wait_dscnt 0x2
	v_pk_add_f32 v[6:7], v[6:7], v[8:9]
	v_pk_add_f32 v[10:11], v[6:7], v[10:11]
	ds_load_2addr_b64 v[6:9], v16 offset0:9 offset1:10
	s_wait_dscnt 0x2
	v_pk_add_f32 v[10:11], v[10:11], v[12:13]
	s_delay_alu instid0(VALU_DEP_1) | instskip(SKIP_3) | instid1(VALU_DEP_1)
	v_pk_add_f32 v[14:15], v[10:11], v[14:15]
	ds_load_2addr_b64 v[10:13], v16 offset0:11 offset1:12
	s_wait_dscnt 0x2
	v_pk_add_f32 v[2:3], v[14:15], v[2:3]
	v_pk_add_f32 v[14:15], v[2:3], v[4:5]
	ds_load_2addr_b64 v[2:5], v16 offset0:13 offset1:14
	;; [unrolled: 9-line block ×5, first 2 shown]
	s_wait_dscnt 0x2
	v_pk_add_f32 v[6:7], v[14:15], v[6:7]
	s_delay_alu instid0(VALU_DEP_1) | instskip(SKIP_3) | instid1(VALU_DEP_1)
	v_pk_add_f32 v[14:15], v[6:7], v[8:9]
	ds_load_2addr_b64 v[6:9], v16 offset0:27 offset1:28
	s_wait_dscnt 0x2
	v_pk_add_f32 v[10:11], v[14:15], v[10:11]
	v_pk_add_f32 v[10:11], v[10:11], v[12:13]
	s_wait_dscnt 0x1
	s_delay_alu instid0(VALU_DEP_1)
	v_pk_add_f32 v[2:3], v[10:11], v[2:3]
	ds_load_2addr_b64 v[10:13], v16 offset0:29 offset1:30
	v_pk_add_f32 v[2:3], v[2:3], v[4:5]
	ds_load_b64 v[4:5], v16 offset:248
	s_wait_dscnt 0x2
	v_pk_add_f32 v[2:3], v[2:3], v[6:7]
	s_delay_alu instid0(VALU_DEP_1) | instskip(SKIP_1) | instid1(VALU_DEP_1)
	v_pk_add_f32 v[2:3], v[2:3], v[8:9]
	s_wait_dscnt 0x1
	v_pk_add_f32 v[2:3], v[2:3], v[10:11]
	s_delay_alu instid0(VALU_DEP_1) | instskip(SKIP_1) | instid1(VALU_DEP_1)
	v_pk_add_f32 v[2:3], v[2:3], v[12:13]
	s_wait_dscnt 0x0
	v_pk_add_f32 v[2:3], v[2:3], v[4:5]
	ds_store_b64 v16, v[2:3]
.LBB16_12:
	s_or_b32 exec_lo, exec_lo, s1
	s_wait_dscnt 0x0
	s_barrier_signal -1
	s_barrier_wait -1
	s_and_saveexec_b32 s0, vcc_lo
	s_cbranch_execz .LBB16_22
; %bb.13:
	s_mul_u64 s[0:1], s[14:15], s[24:25]
	v_dual_mov_b32 v5, 0 :: v_dual_mov_b32 v7, -1
	s_lshl_b64 s[0:1], s[0:1], 3
	v_not_b32_e32 v6, v0
	s_add_nc_u64 s[0:1], s[12:13], s[0:1]
	ds_load_b64 v[2:3], v5
	s_load_b64 s[4:5], s[0:1], 0x0
                                        ; implicit-def: $vgpr12_vgpr13
                                        ; implicit-def: $vgpr10_vgpr11
	s_wait_xcnt 0x0
	s_mov_b32 s1, exec_lo
	v_add_nc_u64_e32 v[14:15], s[2:3], v[6:7]
	s_wait_dscnt 0x0
	s_wait_kmcnt 0x0
	v_dual_mul_f32 v4, s5, v3 :: v_dual_mul_f32 v8, s5, v2
	s_xor_b32 s0, s4, 0x80000000
	s_delay_alu instid0(VALU_DEP_1) | instskip(NEXT) | instid1(VALU_DEP_2)
	v_xor_b32_e32 v6, 0x80000000, v4
	v_xor_b32_e32 v8, 0x80000000, v8
	s_delay_alu instid0(VALU_DEP_1)
	v_dual_fmac_f32 v6, s0, v2 :: v_dual_fmac_f32 v8, s4, v3
	s_mov_b32 s0, 0
                                        ; implicit-def: $vgpr2_vgpr3
	v_cmpx_lt_u64_e32 0x3ff, v[14:15]
	s_xor_b32 s6, exec_lo, s1
	s_cbranch_execnz .LBB16_16
; %bb.14:
	s_and_not1_saveexec_b32 s1, s6
	s_cbranch_execnz .LBB16_19
.LBB16_15:
	s_or_b32 exec_lo, exec_lo, s1
	s_delay_alu instid0(SALU_CYCLE_1)
	s_and_b32 exec_lo, exec_lo, s0
	s_cbranch_execnz .LBB16_20
	s_branch .LBB16_22
.LBB16_16:
	v_lshrrev_b64 v[2:3], 10, v[14:15]
	s_lshl_b64 s[4:5], s[20:21], 3
	s_lshl_b64 s[8:9], s[22:23], 3
	;; [unrolled: 1-line block ×3, first 2 shown]
	s_add_nc_u64 s[4:5], s[4:5], s[8:9]
	v_dual_mov_b32 v7, v6 :: v_dual_mov_b32 v9, v8
	s_delay_alu instid0(VALU_DEP_2)
	v_add_nc_u64_e32 v[10:11], 1, v[2:3]
	v_lshlrev_b32_e32 v4, 3, v0
	s_add_nc_u64 s[8:9], s[4:5], s[0:1]
	v_or_b32_e32 v2, 0x400, v0
	s_add_nc_u64 s[8:9], s[16:17], s[8:9]
	s_mov_b32 s7, 0
	s_delay_alu instid0(VALU_DEP_3) | instskip(SKIP_2) | instid1(VALU_DEP_2)
	v_dual_mov_b32 v3, v1 :: v_dual_mov_b32 v13, v11
	v_and_b32_e32 v12, -2, v10
	v_add_nc_u64_e32 v[4:5], s[8:9], v[4:5]
	v_mov_b64_e32 v[16:17], v[12:13]
	s_delay_alu instid0(VALU_DEP_2)
	v_add_nc_u64_e32 v[14:15], 0x2004, v[4:5]
	v_mov_b64_e32 v[4:5], v[2:3]
	v_mov_b64_e32 v[2:3], v[0:1]
.LBB16_17:                              ; =>This Inner Loop Header: Depth=1
	s_clause 0x1
	global_load_b64 v[18:19], v[14:15], off offset:-8196
	global_load_b64 v[20:21], v[14:15], off offset:-4
	v_lshl_add_u32 v1, v4, 3, 0
	v_lshl_add_u32 v24, v2, 3, 0
	v_add_nc_u64_e32 v[16:17], -2, v[16:17]
	v_add_nc_u64_e32 v[4:5], 0x800, v[4:5]
	ds_load_b64 v[22:23], v1 offset:256
	ds_load_b64 v[24:25], v24 offset:256
	v_add_nc_u64_e32 v[2:3], 0x800, v[2:3]
	v_cmp_eq_u64_e32 vcc_lo, 0, v[16:17]
	s_or_b32 s7, vcc_lo, s7
	s_wait_dscnt 0x0
	v_dual_mov_b32 v27, v22 :: v_dual_mov_b32 v22, v25
	v_mov_b32_e32 v26, v24
	s_delay_alu instid0(VALU_DEP_2) | instskip(SKIP_1) | instid1(VALU_DEP_2)
	v_pk_mul_f32 v[24:25], v[8:9], v[22:23]
	v_pk_mul_f32 v[22:23], v[6:7], v[22:23]
	v_pk_fma_f32 v[24:25], v[6:7], v[26:27], v[24:25] neg_lo:[0,0,1] neg_hi:[0,0,1]
	s_delay_alu instid0(VALU_DEP_2) | instskip(SKIP_3) | instid1(VALU_DEP_2)
	v_pk_fma_f32 v[22:23], v[8:9], v[26:27], v[22:23]
	s_wait_loadcnt 0x0
	v_dual_mov_b32 v26, v18 :: v_dual_mov_b32 v27, v20
	v_mov_b32_e32 v20, v19
	v_pk_add_f32 v[18:19], v[26:27], v[24:25]
	s_delay_alu instid0(VALU_DEP_2) | instskip(NEXT) | instid1(VALU_DEP_1)
	v_pk_add_f32 v[20:21], v[22:23], v[20:21]
	v_dual_mov_b32 v22, v18 :: v_dual_mov_b32 v23, v20
	s_delay_alu instid0(VALU_DEP_3)
	v_mov_b32_e32 v20, v19
	s_clause 0x1
	global_store_b64 v[14:15], v[22:23], off offset:-8196
	global_store_b64 v[14:15], v[20:21], off offset:-4
	s_wait_xcnt 0x0
	v_add_nc_u64_e32 v[14:15], 0x4000, v[14:15]
	s_and_not1_b32 exec_lo, exec_lo, s7
	s_cbranch_execnz .LBB16_17
; %bb.18:
	s_or_b32 exec_lo, exec_lo, s7
	v_lshlrev_b64_e32 v[2:3], 10, v[12:13]
	v_cmp_ne_u64_e32 vcc_lo, v[10:11], v[12:13]
	v_mov_b64_e32 v[10:11], s[0:1]
	v_mov_b64_e32 v[12:13], s[4:5]
	s_delay_alu instid0(VALU_DEP_4)
	v_or_b32_e32 v2, v2, v0
	s_and_b32 s0, vcc_lo, exec_lo
                                        ; implicit-def: $vgpr0_vgpr1
	s_and_not1_saveexec_b32 s1, s6
	s_cbranch_execz .LBB16_15
.LBB16_19:
	s_lshl_b64 s[4:5], s[20:21], 3
	s_lshl_b64 s[6:7], s[22:23], 3
	v_mov_b64_e32 v[2:3], v[0:1]
	s_add_nc_u64 s[4:5], s[4:5], s[6:7]
	s_lshl_b64 s[6:7], s[18:19], 3
	v_mov_b64_e32 v[12:13], s[4:5]
	v_mov_b64_e32 v[10:11], s[6:7]
	s_or_b32 s0, s0, exec_lo
	s_or_b32 exec_lo, exec_lo, s1
	s_delay_alu instid0(SALU_CYCLE_1)
	s_and_b32 exec_lo, exec_lo, s0
	s_cbranch_execz .LBB16_22
.LBB16_20:
	s_delay_alu instid0(VALU_DEP_2) | instskip(SKIP_3) | instid1(VALU_DEP_3)
	v_lshl_add_u64 v[0:1], v[2:3], 3, v[12:13]
	v_dual_mov_b32 v9, v8 :: v_dual_lshlrev_b32 v4, 3, v2
	v_mov_b32_e32 v7, v6
	s_mov_b32 s0, 0
	v_add_nc_u64_e32 v[0:1], v[0:1], v[10:11]
	s_delay_alu instid0(VALU_DEP_3) | instskip(NEXT) | instid1(VALU_DEP_2)
	v_add3_u32 v4, v4, 0, 0x100
	v_add_nc_u64_e32 v[0:1], s[16:17], v[0:1]
.LBB16_21:                              ; =>This Inner Loop Header: Depth=1
	global_load_b64 v[10:11], v[0:1], off
	ds_load_b64 v[12:13], v4
	v_add_nc_u64_e32 v[2:3], 0x400, v[2:3]
	v_add_nc_u32_e32 v4, 0x2000, v4
	s_delay_alu instid0(VALU_DEP_2) | instskip(SKIP_3) | instid1(VALU_DEP_1)
	v_cmp_le_i64_e32 vcc_lo, s[2:3], v[2:3]
	s_or_b32 s0, vcc_lo, s0
	s_wait_dscnt 0x0
	v_pk_mul_f32 v[14:15], v[8:9], v[12:13] op_sel:[0,1] op_sel_hi:[1,0]
	v_pk_fma_f32 v[16:17], v[6:7], v[12:13], v[14:15]
	v_pk_fma_f32 v[12:13], v[6:7], v[12:13], v[14:15] neg_lo:[0,0,1] neg_hi:[0,0,1]
	s_delay_alu instid0(VALU_DEP_2) | instskip(SKIP_1) | instid1(VALU_DEP_1)
	v_mov_b32_e32 v13, v17
	s_wait_loadcnt 0x0
	v_pk_add_f32 v[10:11], v[10:11], v[12:13]
	global_store_b64 v[0:1], v[10:11], off
	s_wait_xcnt 0x0
	v_add_nc_u64_e32 v[0:1], 0x2000, v[0:1]
	s_and_not1_b32 exec_lo, exec_lo, s0
	s_cbranch_execnz .LBB16_21
.LBB16_22:
	s_endpgm
	.section	.rodata,"a",@progbits
	.p2align	6, 0x0
	.amdhsa_kernel _ZN9rocsolver6v33100L16larf_left_kernelILi1024E19rocblas_complex_numIfElPS3_EEvT1_S5_T2_lS5_lPKT0_lS6_lS5_l
		.amdhsa_group_segment_fixed_size 0
		.amdhsa_private_segment_fixed_size 0
		.amdhsa_kernarg_size 96
		.amdhsa_user_sgpr_count 2
		.amdhsa_user_sgpr_dispatch_ptr 0
		.amdhsa_user_sgpr_queue_ptr 0
		.amdhsa_user_sgpr_kernarg_segment_ptr 1
		.amdhsa_user_sgpr_dispatch_id 0
		.amdhsa_user_sgpr_kernarg_preload_length 0
		.amdhsa_user_sgpr_kernarg_preload_offset 0
		.amdhsa_user_sgpr_private_segment_size 0
		.amdhsa_wavefront_size32 1
		.amdhsa_uses_dynamic_stack 0
		.amdhsa_enable_private_segment 0
		.amdhsa_system_sgpr_workgroup_id_x 1
		.amdhsa_system_sgpr_workgroup_id_y 1
		.amdhsa_system_sgpr_workgroup_id_z 1
		.amdhsa_system_sgpr_workgroup_info 0
		.amdhsa_system_vgpr_workitem_id 0
		.amdhsa_next_free_vgpr 28
		.amdhsa_next_free_sgpr 32
		.amdhsa_named_barrier_count 0
		.amdhsa_reserve_vcc 1
		.amdhsa_float_round_mode_32 0
		.amdhsa_float_round_mode_16_64 0
		.amdhsa_float_denorm_mode_32 3
		.amdhsa_float_denorm_mode_16_64 3
		.amdhsa_fp16_overflow 0
		.amdhsa_memory_ordered 1
		.amdhsa_forward_progress 1
		.amdhsa_inst_pref_size 17
		.amdhsa_round_robin_scheduling 0
		.amdhsa_exception_fp_ieee_invalid_op 0
		.amdhsa_exception_fp_denorm_src 0
		.amdhsa_exception_fp_ieee_div_zero 0
		.amdhsa_exception_fp_ieee_overflow 0
		.amdhsa_exception_fp_ieee_underflow 0
		.amdhsa_exception_fp_ieee_inexact 0
		.amdhsa_exception_int_div_zero 0
	.end_amdhsa_kernel
	.section	.text._ZN9rocsolver6v33100L16larf_left_kernelILi1024E19rocblas_complex_numIfElPS3_EEvT1_S5_T2_lS5_lPKT0_lS6_lS5_l,"axG",@progbits,_ZN9rocsolver6v33100L16larf_left_kernelILi1024E19rocblas_complex_numIfElPS3_EEvT1_S5_T2_lS5_lPKT0_lS6_lS5_l,comdat
.Lfunc_end16:
	.size	_ZN9rocsolver6v33100L16larf_left_kernelILi1024E19rocblas_complex_numIfElPS3_EEvT1_S5_T2_lS5_lPKT0_lS6_lS5_l, .Lfunc_end16-_ZN9rocsolver6v33100L16larf_left_kernelILi1024E19rocblas_complex_numIfElPS3_EEvT1_S5_T2_lS5_lPKT0_lS6_lS5_l
                                        ; -- End function
	.set _ZN9rocsolver6v33100L16larf_left_kernelILi1024E19rocblas_complex_numIfElPS3_EEvT1_S5_T2_lS5_lPKT0_lS6_lS5_l.num_vgpr, 28
	.set _ZN9rocsolver6v33100L16larf_left_kernelILi1024E19rocblas_complex_numIfElPS3_EEvT1_S5_T2_lS5_lPKT0_lS6_lS5_l.num_agpr, 0
	.set _ZN9rocsolver6v33100L16larf_left_kernelILi1024E19rocblas_complex_numIfElPS3_EEvT1_S5_T2_lS5_lPKT0_lS6_lS5_l.numbered_sgpr, 32
	.set _ZN9rocsolver6v33100L16larf_left_kernelILi1024E19rocblas_complex_numIfElPS3_EEvT1_S5_T2_lS5_lPKT0_lS6_lS5_l.num_named_barrier, 0
	.set _ZN9rocsolver6v33100L16larf_left_kernelILi1024E19rocblas_complex_numIfElPS3_EEvT1_S5_T2_lS5_lPKT0_lS6_lS5_l.private_seg_size, 0
	.set _ZN9rocsolver6v33100L16larf_left_kernelILi1024E19rocblas_complex_numIfElPS3_EEvT1_S5_T2_lS5_lPKT0_lS6_lS5_l.uses_vcc, 1
	.set _ZN9rocsolver6v33100L16larf_left_kernelILi1024E19rocblas_complex_numIfElPS3_EEvT1_S5_T2_lS5_lPKT0_lS6_lS5_l.uses_flat_scratch, 0
	.set _ZN9rocsolver6v33100L16larf_left_kernelILi1024E19rocblas_complex_numIfElPS3_EEvT1_S5_T2_lS5_lPKT0_lS6_lS5_l.has_dyn_sized_stack, 0
	.set _ZN9rocsolver6v33100L16larf_left_kernelILi1024E19rocblas_complex_numIfElPS3_EEvT1_S5_T2_lS5_lPKT0_lS6_lS5_l.has_recursion, 0
	.set _ZN9rocsolver6v33100L16larf_left_kernelILi1024E19rocblas_complex_numIfElPS3_EEvT1_S5_T2_lS5_lPKT0_lS6_lS5_l.has_indirect_call, 0
	.section	.AMDGPU.csdata,"",@progbits
; Kernel info:
; codeLenInByte = 2172
; TotalNumSgprs: 34
; NumVgprs: 28
; ScratchSize: 0
; MemoryBound: 0
; FloatMode: 240
; IeeeMode: 1
; LDSByteSize: 0 bytes/workgroup (compile time only)
; SGPRBlocks: 0
; VGPRBlocks: 1
; NumSGPRsForWavesPerEU: 34
; NumVGPRsForWavesPerEU: 28
; NamedBarCnt: 0
; Occupancy: 16
; WaveLimiterHint : 1
; COMPUTE_PGM_RSRC2:SCRATCH_EN: 0
; COMPUTE_PGM_RSRC2:USER_SGPR: 2
; COMPUTE_PGM_RSRC2:TRAP_HANDLER: 0
; COMPUTE_PGM_RSRC2:TGID_X_EN: 1
; COMPUTE_PGM_RSRC2:TGID_Y_EN: 1
; COMPUTE_PGM_RSRC2:TGID_Z_EN: 1
; COMPUTE_PGM_RSRC2:TIDIG_COMP_CNT: 0
	.section	.text._ZN9rocsolver6v33100L17larf_right_kernelILi1024E19rocblas_complex_numIfElPS3_EEvT1_S5_T2_lS5_lPKT0_lS6_lS5_l,"axG",@progbits,_ZN9rocsolver6v33100L17larf_right_kernelILi1024E19rocblas_complex_numIfElPS3_EEvT1_S5_T2_lS5_lPKT0_lS6_lS5_l,comdat
	.globl	_ZN9rocsolver6v33100L17larf_right_kernelILi1024E19rocblas_complex_numIfElPS3_EEvT1_S5_T2_lS5_lPKT0_lS6_lS5_l ; -- Begin function _ZN9rocsolver6v33100L17larf_right_kernelILi1024E19rocblas_complex_numIfElPS3_EEvT1_S5_T2_lS5_lPKT0_lS6_lS5_l
	.p2align	8
	.type	_ZN9rocsolver6v33100L17larf_right_kernelILi1024E19rocblas_complex_numIfElPS3_EEvT1_S5_T2_lS5_lPKT0_lS6_lS5_l,@function
_ZN9rocsolver6v33100L17larf_right_kernelILi1024E19rocblas_complex_numIfElPS3_EEvT1_S5_T2_lS5_lPKT0_lS6_lS5_l: ; @_ZN9rocsolver6v33100L17larf_right_kernelILi1024E19rocblas_complex_numIfElPS3_EEvT1_S5_T2_lS5_lPKT0_lS6_lS5_l
; %bb.0:
	s_load_b512 s[4:19], s[0:1], 0x8
	s_mov_b64 s[26:27], 0
	s_wait_kmcnt 0x0
	v_cmp_gt_i64_e64 s2, s[10:11], 0
	s_and_b32 vcc_lo, exec_lo, s2
	s_cbranch_vccnz .LBB17_2
; %bb.1:
	s_sub_nc_u64 s[2:3], 1, s[4:5]
	s_delay_alu instid0(SALU_CYCLE_1)
	s_mul_u64 s[26:27], s[10:11], s[2:3]
.LBB17_2:
	s_clause 0x1
	s_load_b128 s[20:23], s[0:1], 0x48
	s_load_b64 s[24:25], s[0:1], 0x58
	s_wait_xcnt 0x0
	s_bfe_u32 s0, ttmp6, 0x40010
	s_and_b32 s1, ttmp7, 0xffff
	s_add_co_i32 s0, s0, 1
	s_bfe_u32 s28, ttmp6, 0x40014
	v_dual_mov_b32 v1, 0 :: v_dual_lshlrev_b32 v8, 3, v0
	s_mul_i32 s0, s1, s0
	s_bfe_u32 s2, ttmp6, 0x40004
	s_lshr_b32 s29, ttmp7, 16
	s_add_co_i32 s28, s28, 1
	s_add_co_i32 s0, s2, s0
	s_mul_i32 s2, s29, s28
	s_bfe_u32 s28, ttmp6, 0x40008
	s_getreg_b32 s30, hwreg(HW_REG_IB_STS2, 6, 4)
	s_add_co_i32 s28, s28, s2
	v_cmp_gt_i64_e32 vcc_lo, s[4:5], v[0:1]
	s_cmp_eq_u32 s30, 0
	v_dual_mov_b32 v3, v1 :: v_dual_mov_b32 v2, v1
	s_mov_b32 s3, 0
	s_cselect_b32 s2, s29, s28
	s_cselect_b32 s28, s1, s0
	s_wait_kmcnt 0x0
	s_mul_u64 s[24:25], s[24:25], s[2:3]
	s_and_saveexec_b32 s29, vcc_lo
	s_cbranch_execz .LBB17_8
; %bb.3:
	v_mul_u64_e32 v[2:3], s[10:11], v[0:1]
	s_lshl_b64 s[8:9], s[8:9], 3
	s_mul_u64 s[0:1], s[12:13], s[2:3]
	s_lshl_b64 s[12:13], s[26:27], 3
	s_add_nc_u64 s[6:7], s[6:7], s[8:9]
	v_add3_u32 v9, v8, 0, 0x100
	s_lshl_b64 s[0:1], s[0:1], 3
	s_add_nc_u64 s[6:7], s[6:7], s[12:13]
	v_mov_b64_e32 v[4:5], v[0:1]
	s_add_nc_u64 s[0:1], s[6:7], s[0:1]
	v_mov_b32_e32 v6, v9
	s_lshl_b64 s[6:7], s[10:11], 13
	s_delay_alu instid0(VALU_DEP_4)
	v_lshl_add_u64 v[2:3], v[2:3], 3, s[0:1]
	s_mov_b32 s1, s3
.LBB17_4:                               ; =>This Inner Loop Header: Depth=1
	global_load_b64 v[10:11], v[2:3], off
	v_add_nc_u64_e32 v[4:5], 0x400, v[4:5]
	s_wait_xcnt 0x0
	v_add_nc_u64_e32 v[2:3], s[6:7], v[2:3]
	s_delay_alu instid0(VALU_DEP_2)
	v_cmp_le_i64_e64 s0, s[4:5], v[4:5]
	s_or_b32 s1, s0, s1
	s_wait_loadcnt 0x0
	ds_store_b64 v6, v[10:11]
	v_add_nc_u32_e32 v6, 0x2000, v6
	s_and_not1_b32 exec_lo, exec_lo, s1
	s_cbranch_execnz .LBB17_4
; %bb.5:
	s_or_b32 exec_lo, exec_lo, s1
	v_mul_u64_e32 v[6:7], s[22:23], v[0:1]
	s_lshl_b32 s0, s28, 3
	s_mov_b32 s1, 0
	s_lshl_b64 s[8:9], s[20:21], 3
	s_add_nc_u64 s[10:11], s[18:19], s[0:1]
	v_mov_b32_e32 v2, 0
	s_lshl_b64 s[6:7], s[24:25], 3
	s_add_nc_u64 s[8:9], s[10:11], s[8:9]
	v_mov_b64_e32 v[4:5], v[0:1]
	s_add_nc_u64 s[6:7], s[8:9], s[6:7]
	v_mov_b32_e32 v3, v2
	s_delay_alu instid0(VALU_DEP_4)
	v_lshl_add_u64 v[6:7], v[6:7], 3, s[6:7]
	s_lshl_b64 s[6:7], s[22:23], 13
.LBB17_6:                               ; =>This Inner Loop Header: Depth=1
	global_load_b64 v[10:11], v[6:7], off
	ds_load_b64 v[12:13], v9
	v_add_nc_u64_e32 v[4:5], 0x400, v[4:5]
	s_wait_xcnt 0x0
	v_add_nc_u64_e32 v[6:7], s[6:7], v[6:7]
	v_add_nc_u32_e32 v9, 0x2000, v9
	s_delay_alu instid0(VALU_DEP_3) | instskip(SKIP_3) | instid1(VALU_DEP_1)
	v_cmp_le_i64_e64 s0, s[4:5], v[4:5]
	s_or_b32 s1, s0, s1
	s_wait_loadcnt_dscnt 0x0
	v_pk_mul_f32 v[14:15], v[12:13], v[10:11] op_sel:[1,1] op_sel_hi:[0,1]
	v_pk_fma_f32 v[16:17], v[12:13], v[10:11], v[14:15] op_sel_hi:[1,0,1]
	v_pk_fma_f32 v[10:11], v[12:13], v[10:11], v[14:15] neg_lo:[0,0,1] neg_hi:[0,0,1]
	s_delay_alu instid0(VALU_DEP_2) | instskip(NEXT) | instid1(VALU_DEP_1)
	v_mov_b32_e32 v11, v17
	v_pk_add_f32 v[2:3], v[2:3], v[10:11]
	s_and_not1_b32 exec_lo, exec_lo, s1
	s_cbranch_execnz .LBB17_6
; %bb.7:
	s_or_b32 exec_lo, exec_lo, s1
.LBB17_8:
	s_delay_alu instid0(SALU_CYCLE_1) | instskip(SKIP_2) | instid1(VALU_DEP_1)
	s_or_b32 exec_lo, exec_lo, s29
	v_mbcnt_lo_u32_b32 v6, -1, 0
	s_mov_b32 s1, exec_lo
	v_cmp_ne_u32_e64 s0, 31, v6
	s_delay_alu instid0(VALU_DEP_1) | instskip(SKIP_1) | instid1(VALU_DEP_2)
	v_add_co_ci_u32_e64 v4, null, 0, v6, s0
	v_cmp_gt_u32_e64 s0, 30, v6
	v_lshlrev_b32_e32 v5, 2, v4
	s_delay_alu instid0(VALU_DEP_2)
	v_cndmask_b32_e64 v7, 0, 2, s0
	v_cmp_gt_u32_e64 s0, 28, v6
	ds_bpermute_b32 v4, v5, v2
	ds_bpermute_b32 v5, v5, v3
	v_add_lshl_u32 v7, v7, v6, 2
	s_wait_dscnt 0x0
	v_pk_add_f32 v[2:3], v[2:3], v[4:5]
	ds_bpermute_b32 v4, v7, v2
	ds_bpermute_b32 v5, v7, v3
	v_cndmask_b32_e64 v7, 0, 4, s0
	v_cmp_gt_u32_e64 s0, 24, v6
	s_delay_alu instid0(VALU_DEP_2)
	v_add_lshl_u32 v7, v7, v6, 2
	s_wait_dscnt 0x0
	v_pk_add_f32 v[2:3], v[2:3], v[4:5]
	ds_bpermute_b32 v4, v7, v2
	ds_bpermute_b32 v5, v7, v3
	v_cndmask_b32_e64 v7, 0, 8, s0
	s_delay_alu instid0(VALU_DEP_1)
	v_add_lshl_u32 v7, v7, v6, 2
	v_lshl_or_b32 v6, v6, 2, 64
	s_wait_dscnt 0x0
	v_pk_add_f32 v[2:3], v[2:3], v[4:5]
	ds_bpermute_b32 v4, v7, v2
	ds_bpermute_b32 v5, v7, v3
	s_wait_dscnt 0x0
	v_pk_add_f32 v[2:3], v[2:3], v[4:5]
	ds_bpermute_b32 v4, v6, v2
	ds_bpermute_b32 v5, v6, v3
	v_and_b32_e32 v6, 31, v0
	s_wait_dscnt 0x0
	v_pk_add_f32 v[2:3], v[2:3], v[4:5]
	s_delay_alu instid0(VALU_DEP_2)
	v_cmpx_eq_u32_e32 0, v6
; %bb.9:
	v_lshrrev_b32_e32 v4, 2, v0
	s_delay_alu instid0(VALU_DEP_1)
	v_add_nc_u32_e32 v4, 0, v4
	ds_store_2addr_b32 v4, v2, v3 offset1:1
; %bb.10:
	s_or_b32 exec_lo, exec_lo, s1
	s_delay_alu instid0(SALU_CYCLE_1)
	s_mov_b32 s1, exec_lo
	s_wait_dscnt 0x0
	s_barrier_signal -1
	s_barrier_wait -1
	v_cmpx_eq_u32_e32 0, v0
	s_cbranch_execz .LBB17_12
; %bb.11:
	v_mov_b32_e32 v9, 0
	ds_load_2addr_b64 v[4:7], v9 offset0:1 offset1:2
	ds_load_2addr_b64 v[10:13], v9 offset0:3 offset1:4
	;; [unrolled: 1-line block ×3, first 2 shown]
	s_wait_dscnt 0x2
	v_pk_add_f32 v[2:3], v[2:3], v[4:5]
	s_delay_alu instid0(VALU_DEP_1) | instskip(SKIP_3) | instid1(VALU_DEP_1)
	v_pk_add_f32 v[6:7], v[2:3], v[6:7]
	ds_load_2addr_b64 v[2:5], v9 offset0:7 offset1:8
	s_wait_dscnt 0x2
	v_pk_add_f32 v[6:7], v[6:7], v[10:11]
	v_pk_add_f32 v[6:7], v[6:7], v[12:13]
	ds_load_2addr_b64 v[10:13], v9 offset0:9 offset1:10
	s_wait_dscnt 0x2
	v_pk_add_f32 v[6:7], v[6:7], v[14:15]
	s_delay_alu instid0(VALU_DEP_1) | instskip(SKIP_3) | instid1(VALU_DEP_1)
	v_pk_add_f32 v[6:7], v[6:7], v[16:17]
	ds_load_2addr_b64 v[14:17], v9 offset0:11 offset1:12
	s_wait_dscnt 0x2
	v_pk_add_f32 v[2:3], v[6:7], v[2:3]
	v_pk_add_f32 v[6:7], v[2:3], v[4:5]
	ds_load_2addr_b64 v[2:5], v9 offset0:13 offset1:14
	;; [unrolled: 9-line block ×6, first 2 shown]
	s_wait_dscnt 0x2
	v_pk_add_f32 v[2:3], v[6:7], v[2:3]
	s_delay_alu instid0(VALU_DEP_1) | instskip(SKIP_3) | instid1(VALU_DEP_1)
	v_pk_add_f32 v[2:3], v[2:3], v[4:5]
	ds_load_b64 v[4:5], v9 offset:248
	s_wait_dscnt 0x2
	v_pk_add_f32 v[2:3], v[2:3], v[10:11]
	v_pk_add_f32 v[2:3], v[2:3], v[12:13]
	s_wait_dscnt 0x1
	s_delay_alu instid0(VALU_DEP_1) | instskip(NEXT) | instid1(VALU_DEP_1)
	v_pk_add_f32 v[2:3], v[2:3], v[14:15]
	v_pk_add_f32 v[2:3], v[2:3], v[16:17]
	s_wait_dscnt 0x0
	s_delay_alu instid0(VALU_DEP_1)
	v_pk_add_f32 v[2:3], v[2:3], v[4:5]
	ds_store_b64 v9, v[2:3]
.LBB17_12:
	s_or_b32 exec_lo, exec_lo, s1
	s_wait_dscnt 0x0
	s_barrier_signal -1
	s_barrier_wait -1
	s_and_saveexec_b32 s0, vcc_lo
	s_cbranch_execz .LBB17_15
; %bb.13:
	s_mul_u64 s[0:1], s[16:17], s[2:3]
	v_mul_u64_e32 v[10:11], s[22:23], v[0:1]
	s_lshl_b64 s[0:1], s[0:1], 3
	s_lshl_b64 s[8:9], s[20:21], 3
	s_add_nc_u64 s[0:1], s[14:15], s[0:1]
	s_lshl_b64 s[6:7], s[24:25], 3
	s_load_b64 s[2:3], s[0:1], 0x0
	v_mov_b32_e32 v2, 0
	s_wait_xcnt 0x0
	s_mov_b32 s1, 0
	s_lshl_b32 s0, s28, 3
	v_add3_u32 v8, v8, 0, 0x100
	s_add_nc_u64 s[10:11], s[18:19], s[0:1]
	ds_load_b64 v[6:7], v2
	s_add_nc_u64 s[8:9], s[10:11], s[8:9]
	s_wait_kmcnt 0x0
	s_xor_b32 s0, s3, 0x80000000
	s_wait_dscnt 0x0
	v_mul_f32_e32 v3, s2, v6
	s_delay_alu instid0(VALU_DEP_1) | instskip(NEXT) | instid1(VALU_DEP_1)
	v_xor_b32_e32 v4, 0x80000000, v3
	v_dual_mul_f32 v2, s2, v7 :: v_dual_fmac_f32 v4, s3, v7
	s_delay_alu instid0(VALU_DEP_1) | instskip(SKIP_1) | instid1(VALU_DEP_1)
	v_xor_b32_e32 v2, 0x80000000, v2
	s_add_nc_u64 s[2:3], s[8:9], s[6:7]
	v_dual_mov_b32 v5, v4 :: v_dual_fmac_f32 v2, s0, v6
	v_lshl_add_u64 v[6:7], v[10:11], 3, s[2:3]
	s_lshl_b64 s[2:3], s[22:23], 13
	s_delay_alu instid0(VALU_DEP_2)
	v_mov_b32_e32 v3, v2
.LBB17_14:                              ; =>This Inner Loop Header: Depth=1
	global_load_b64 v[10:11], v[6:7], off
	ds_load_b64 v[12:13], v8
	v_add_nc_u64_e32 v[0:1], 0x400, v[0:1]
	v_add_nc_u32_e32 v8, 0x2000, v8
	s_delay_alu instid0(VALU_DEP_2) | instskip(SKIP_3) | instid1(VALU_DEP_1)
	v_cmp_le_i64_e32 vcc_lo, s[4:5], v[0:1]
	s_or_b32 s1, vcc_lo, s1
	s_wait_dscnt 0x0
	v_pk_mul_f32 v[14:15], v[4:5], v[12:13]
	v_pk_fma_f32 v[16:17], v[2:3], v[12:13], v[14:15] op_sel:[0,1,0] op_sel_hi:[1,0,1] neg_lo:[0,0,1] neg_hi:[0,0,1]
	v_pk_fma_f32 v[12:13], v[2:3], v[12:13], v[14:15] op_sel:[0,1,0] op_sel_hi:[1,0,1]
	s_delay_alu instid0(VALU_DEP_2) | instskip(SKIP_1) | instid1(VALU_DEP_1)
	v_mov_b32_e32 v13, v17
	s_wait_loadcnt 0x0
	v_pk_add_f32 v[10:11], v[10:11], v[12:13]
	global_store_b64 v[6:7], v[10:11], off
	s_wait_xcnt 0x0
	v_add_nc_u64_e32 v[6:7], s[2:3], v[6:7]
	s_and_not1_b32 exec_lo, exec_lo, s1
	s_cbranch_execnz .LBB17_14
.LBB17_15:
	s_endpgm
	.section	.rodata,"a",@progbits
	.p2align	6, 0x0
	.amdhsa_kernel _ZN9rocsolver6v33100L17larf_right_kernelILi1024E19rocblas_complex_numIfElPS3_EEvT1_S5_T2_lS5_lPKT0_lS6_lS5_l
		.amdhsa_group_segment_fixed_size 0
		.amdhsa_private_segment_fixed_size 0
		.amdhsa_kernarg_size 96
		.amdhsa_user_sgpr_count 2
		.amdhsa_user_sgpr_dispatch_ptr 0
		.amdhsa_user_sgpr_queue_ptr 0
		.amdhsa_user_sgpr_kernarg_segment_ptr 1
		.amdhsa_user_sgpr_dispatch_id 0
		.amdhsa_user_sgpr_kernarg_preload_length 0
		.amdhsa_user_sgpr_kernarg_preload_offset 0
		.amdhsa_user_sgpr_private_segment_size 0
		.amdhsa_wavefront_size32 1
		.amdhsa_uses_dynamic_stack 0
		.amdhsa_enable_private_segment 0
		.amdhsa_system_sgpr_workgroup_id_x 1
		.amdhsa_system_sgpr_workgroup_id_y 1
		.amdhsa_system_sgpr_workgroup_id_z 1
		.amdhsa_system_sgpr_workgroup_info 0
		.amdhsa_system_vgpr_workitem_id 0
		.amdhsa_next_free_vgpr 18
		.amdhsa_next_free_sgpr 31
		.amdhsa_named_barrier_count 0
		.amdhsa_reserve_vcc 1
		.amdhsa_float_round_mode_32 0
		.amdhsa_float_round_mode_16_64 0
		.amdhsa_float_denorm_mode_32 3
		.amdhsa_float_denorm_mode_16_64 3
		.amdhsa_fp16_overflow 0
		.amdhsa_memory_ordered 1
		.amdhsa_forward_progress 1
		.amdhsa_inst_pref_size 13
		.amdhsa_round_robin_scheduling 0
		.amdhsa_exception_fp_ieee_invalid_op 0
		.amdhsa_exception_fp_denorm_src 0
		.amdhsa_exception_fp_ieee_div_zero 0
		.amdhsa_exception_fp_ieee_overflow 0
		.amdhsa_exception_fp_ieee_underflow 0
		.amdhsa_exception_fp_ieee_inexact 0
		.amdhsa_exception_int_div_zero 0
	.end_amdhsa_kernel
	.section	.text._ZN9rocsolver6v33100L17larf_right_kernelILi1024E19rocblas_complex_numIfElPS3_EEvT1_S5_T2_lS5_lPKT0_lS6_lS5_l,"axG",@progbits,_ZN9rocsolver6v33100L17larf_right_kernelILi1024E19rocblas_complex_numIfElPS3_EEvT1_S5_T2_lS5_lPKT0_lS6_lS5_l,comdat
.Lfunc_end17:
	.size	_ZN9rocsolver6v33100L17larf_right_kernelILi1024E19rocblas_complex_numIfElPS3_EEvT1_S5_T2_lS5_lPKT0_lS6_lS5_l, .Lfunc_end17-_ZN9rocsolver6v33100L17larf_right_kernelILi1024E19rocblas_complex_numIfElPS3_EEvT1_S5_T2_lS5_lPKT0_lS6_lS5_l
                                        ; -- End function
	.set _ZN9rocsolver6v33100L17larf_right_kernelILi1024E19rocblas_complex_numIfElPS3_EEvT1_S5_T2_lS5_lPKT0_lS6_lS5_l.num_vgpr, 18
	.set _ZN9rocsolver6v33100L17larf_right_kernelILi1024E19rocblas_complex_numIfElPS3_EEvT1_S5_T2_lS5_lPKT0_lS6_lS5_l.num_agpr, 0
	.set _ZN9rocsolver6v33100L17larf_right_kernelILi1024E19rocblas_complex_numIfElPS3_EEvT1_S5_T2_lS5_lPKT0_lS6_lS5_l.numbered_sgpr, 31
	.set _ZN9rocsolver6v33100L17larf_right_kernelILi1024E19rocblas_complex_numIfElPS3_EEvT1_S5_T2_lS5_lPKT0_lS6_lS5_l.num_named_barrier, 0
	.set _ZN9rocsolver6v33100L17larf_right_kernelILi1024E19rocblas_complex_numIfElPS3_EEvT1_S5_T2_lS5_lPKT0_lS6_lS5_l.private_seg_size, 0
	.set _ZN9rocsolver6v33100L17larf_right_kernelILi1024E19rocblas_complex_numIfElPS3_EEvT1_S5_T2_lS5_lPKT0_lS6_lS5_l.uses_vcc, 1
	.set _ZN9rocsolver6v33100L17larf_right_kernelILi1024E19rocblas_complex_numIfElPS3_EEvT1_S5_T2_lS5_lPKT0_lS6_lS5_l.uses_flat_scratch, 0
	.set _ZN9rocsolver6v33100L17larf_right_kernelILi1024E19rocblas_complex_numIfElPS3_EEvT1_S5_T2_lS5_lPKT0_lS6_lS5_l.has_dyn_sized_stack, 0
	.set _ZN9rocsolver6v33100L17larf_right_kernelILi1024E19rocblas_complex_numIfElPS3_EEvT1_S5_T2_lS5_lPKT0_lS6_lS5_l.has_recursion, 0
	.set _ZN9rocsolver6v33100L17larf_right_kernelILi1024E19rocblas_complex_numIfElPS3_EEvT1_S5_T2_lS5_lPKT0_lS6_lS5_l.has_indirect_call, 0
	.section	.AMDGPU.csdata,"",@progbits
; Kernel info:
; codeLenInByte = 1660
; TotalNumSgprs: 33
; NumVgprs: 18
; ScratchSize: 0
; MemoryBound: 0
; FloatMode: 240
; IeeeMode: 1
; LDSByteSize: 0 bytes/workgroup (compile time only)
; SGPRBlocks: 0
; VGPRBlocks: 1
; NumSGPRsForWavesPerEU: 33
; NumVGPRsForWavesPerEU: 18
; NamedBarCnt: 0
; Occupancy: 16
; WaveLimiterHint : 0
; COMPUTE_PGM_RSRC2:SCRATCH_EN: 0
; COMPUTE_PGM_RSRC2:USER_SGPR: 2
; COMPUTE_PGM_RSRC2:TRAP_HANDLER: 0
; COMPUTE_PGM_RSRC2:TGID_X_EN: 1
; COMPUTE_PGM_RSRC2:TGID_Y_EN: 1
; COMPUTE_PGM_RSRC2:TGID_Z_EN: 1
; COMPUTE_PGM_RSRC2:TIDIG_COMP_CNT: 0
	.section	.text._ZN9rocsolver6v33100L16larf_left_kernelILi1024E19rocblas_complex_numIdElPS3_EEvT1_S5_T2_lS5_lPKT0_lS6_lS5_l,"axG",@progbits,_ZN9rocsolver6v33100L16larf_left_kernelILi1024E19rocblas_complex_numIdElPS3_EEvT1_S5_T2_lS5_lPKT0_lS6_lS5_l,comdat
	.globl	_ZN9rocsolver6v33100L16larf_left_kernelILi1024E19rocblas_complex_numIdElPS3_EEvT1_S5_T2_lS5_lPKT0_lS6_lS5_l ; -- Begin function _ZN9rocsolver6v33100L16larf_left_kernelILi1024E19rocblas_complex_numIdElPS3_EEvT1_S5_T2_lS5_lPKT0_lS6_lS5_l
	.p2align	8
	.type	_ZN9rocsolver6v33100L16larf_left_kernelILi1024E19rocblas_complex_numIdElPS3_EEvT1_S5_T2_lS5_lPKT0_lS6_lS5_l,@function
_ZN9rocsolver6v33100L16larf_left_kernelILi1024E19rocblas_complex_numIdElPS3_EEvT1_S5_T2_lS5_lPKT0_lS6_lS5_l: ; @_ZN9rocsolver6v33100L16larf_left_kernelILi1024E19rocblas_complex_numIdElPS3_EEvT1_S5_T2_lS5_lPKT0_lS6_lS5_l
; %bb.0:
	s_clause 0x1
	s_load_b512 s[4:19], s[0:1], 0x10
	s_load_b64 s[2:3], s[0:1], 0x0
	s_mov_b64 s[26:27], 0
	s_wait_kmcnt 0x0
	v_cmp_gt_i64_e64 s20, s[8:9], 0
	s_and_b32 vcc_lo, exec_lo, s20
	s_cbranch_vccnz .LBB18_2
; %bb.1:
	s_sub_nc_u64 s[20:21], 1, s[2:3]
	s_delay_alu instid0(SALU_CYCLE_1)
	s_mul_u64 s[26:27], s[8:9], s[20:21]
.LBB18_2:
	s_load_b128 s[28:31], s[0:1], 0x50
	s_bfe_u32 s20, ttmp6, 0x40010
	s_and_b32 s21, ttmp7, 0xffff
	s_add_co_i32 s20, s20, 1
	v_dual_mov_b32 v1, 0 :: v_dual_lshlrev_b32 v2, 4, v0
	s_wait_xcnt 0x0
	s_mul_i32 s0, s21, s20
	s_bfe_u32 s20, ttmp6, 0x40014
	s_bfe_u32 s1, ttmp6, 0x40004
	s_lshr_b32 s22, ttmp7, 16
	s_add_co_i32 s20, s20, 1
	s_add_co_i32 s1, s1, s0
	s_mul_i32 s0, s22, s20
	s_bfe_u32 s20, ttmp6, 0x40008
	s_getreg_b32 s23, hwreg(HW_REG_IB_STS2, 6, 4)
	s_add_co_i32 s20, s20, s0
	v_cmp_gt_i64_e32 vcc_lo, s[2:3], v[0:1]
	v_mov_b64_e32 v[4:5], 0
	v_mov_b64_e32 v[6:7], 0
	s_cmp_eq_u32 s23, 0
	s_mov_b32 s25, 0
	s_cselect_b32 s24, s22, s20
	s_cselect_b32 s0, s21, s1
	s_mov_b32 s1, s25
	s_wait_kmcnt 0x0
	s_mul_u64 s[20:21], s[30:31], s[24:25]
	s_mul_u64 s[22:23], s[28:29], s[0:1]
	s_and_saveexec_b32 s1, vcc_lo
	s_cbranch_execz .LBB18_8
; %bb.3:
	v_mul_u64_e32 v[4:5], s[8:9], v[0:1]
	s_lshl_b64 s[6:7], s[6:7], 4
	s_mul_u64 s[10:11], s[10:11], s[24:25]
	s_lshl_b64 s[26:27], s[26:27], 4
	s_add_nc_u64 s[4:5], s[4:5], s[6:7]
	v_add3_u32 v12, v2, 0, 0x200
	s_lshl_b64 s[6:7], s[10:11], 4
	s_add_nc_u64 s[4:5], s[4:5], s[26:27]
	v_mov_b64_e32 v[6:7], v[0:1]
	s_add_nc_u64 s[4:5], s[4:5], s[6:7]
	v_mov_b32_e32 v3, v12
	s_mov_b32 s6, s25
	s_delay_alu instid0(VALU_DEP_4)
	v_lshl_add_u64 v[4:5], v[4:5], 4, s[4:5]
	s_lshl_b64 s[4:5], s[8:9], 14
.LBB18_4:                               ; =>This Inner Loop Header: Depth=1
	global_load_b128 v[8:11], v[4:5], off
	v_add_nc_u64_e32 v[6:7], 0x400, v[6:7]
	s_wait_xcnt 0x0
	v_add_nc_u64_e32 v[4:5], s[4:5], v[4:5]
	s_delay_alu instid0(VALU_DEP_2)
	v_cmp_le_i64_e64 s0, s[2:3], v[6:7]
	s_or_b32 s6, s0, s6
	s_wait_loadcnt 0x0
	ds_store_2addr_b64 v3, v[8:9], v[10:11] offset1:1
	v_add_nc_u32_e32 v3, 0x4000, v3
	s_and_not1_b32 exec_lo, exec_lo, s6
	s_cbranch_execnz .LBB18_4
; %bb.5:
	s_or_b32 exec_lo, exec_lo, s6
	s_lshl_b64 s[4:5], s[20:21], 4
	s_lshl_b64 s[6:7], s[22:23], 4
	v_mov_b32_e32 v3, 0
	s_add_nc_u64 s[4:5], s[4:5], s[6:7]
	s_lshl_b64 s[6:7], s[18:19], 4
	v_mov_b64_e32 v[4:5], 0
	s_add_nc_u64 s[4:5], s[4:5], s[6:7]
	v_mov_b64_e32 v[10:11], v[0:1]
	s_add_nc_u64 s[4:5], s[16:17], s[4:5]
	s_delay_alu instid0(SALU_CYCLE_1) | instskip(SKIP_1) | instid1(VALU_DEP_1)
	v_add_nc_u64_e32 v[6:7], s[4:5], v[2:3]
	s_mov_b32 s4, 0
	v_add_nc_u64_e32 v[8:9], 8, v[6:7]
	v_mov_b64_e32 v[6:7], 0
.LBB18_6:                               ; =>This Inner Loop Header: Depth=1
	global_load_b128 v[14:17], v[8:9], off offset:-8
	ds_load_2addr_b64 v[18:21], v12 offset1:1
	v_add_nc_u64_e32 v[10:11], 0x400, v[10:11]
	s_wait_xcnt 0x0
	v_add_nc_u64_e32 v[8:9], 0x4000, v[8:9]
	v_add_nc_u32_e32 v12, 0x4000, v12
	s_delay_alu instid0(VALU_DEP_3) | instskip(SKIP_4) | instid1(VALU_DEP_2)
	v_cmp_le_i64_e64 s0, s[2:3], v[10:11]
	s_or_b32 s4, s0, s4
	s_wait_loadcnt_dscnt 0x0
	v_mul_f64_e32 v[22:23], v[16:17], v[20:21]
	v_mul_f64_e32 v[16:17], v[16:17], v[18:19]
	v_fmac_f64_e32 v[22:23], v[14:15], v[18:19]
	s_delay_alu instid0(VALU_DEP_2) | instskip(NEXT) | instid1(VALU_DEP_2)
	v_fma_f64 v[14:15], v[14:15], v[20:21], -v[16:17]
	v_add_f64_e32 v[6:7], v[6:7], v[22:23]
	s_delay_alu instid0(VALU_DEP_2)
	v_add_f64_e32 v[4:5], v[4:5], v[14:15]
	s_and_not1_b32 exec_lo, exec_lo, s4
	s_cbranch_execnz .LBB18_6
; %bb.7:
	s_or_b32 exec_lo, exec_lo, s4
.LBB18_8:
	s_delay_alu instid0(SALU_CYCLE_1) | instskip(SKIP_2) | instid1(VALU_DEP_1)
	s_or_b32 exec_lo, exec_lo, s1
	v_mbcnt_lo_u32_b32 v3, -1, 0
	s_mov_b32 s1, exec_lo
	v_cmp_ne_u32_e64 s0, 31, v3
	s_delay_alu instid0(VALU_DEP_1) | instskip(SKIP_1) | instid1(VALU_DEP_2)
	v_add_co_ci_u32_e64 v8, null, 0, v3, s0
	v_cmp_gt_u32_e64 s0, 30, v3
	v_lshlrev_b32_e32 v11, 2, v8
	ds_bpermute_b32 v8, v11, v6
	ds_bpermute_b32 v9, v11, v7
	;; [unrolled: 1-line block ×4, first 2 shown]
	s_wait_dscnt 0x2
	v_add_f64_e32 v[6:7], v[6:7], v[8:9]
	v_cndmask_b32_e64 v8, 0, 2, s0
	s_wait_dscnt 0x0
	v_add_f64_e32 v[4:5], v[4:5], v[10:11]
	v_cmp_gt_u32_e64 s0, 28, v3
	s_delay_alu instid0(VALU_DEP_3)
	v_add_lshl_u32 v11, v8, v3, 2
	ds_bpermute_b32 v8, v11, v6
	ds_bpermute_b32 v9, v11, v7
	;; [unrolled: 1-line block ×4, first 2 shown]
	s_wait_dscnt 0x2
	v_add_f64_e32 v[6:7], v[6:7], v[8:9]
	v_cndmask_b32_e64 v8, 0, 4, s0
	s_wait_dscnt 0x0
	v_add_f64_e32 v[4:5], v[4:5], v[10:11]
	v_cmp_gt_u32_e64 s0, 24, v3
	s_delay_alu instid0(VALU_DEP_3)
	v_add_lshl_u32 v11, v8, v3, 2
	ds_bpermute_b32 v8, v11, v6
	ds_bpermute_b32 v9, v11, v7
	;; [unrolled: 1-line block ×4, first 2 shown]
	s_wait_dscnt 0x2
	v_add_f64_e32 v[6:7], v[6:7], v[8:9]
	v_cndmask_b32_e64 v8, 0, 8, s0
	s_wait_dscnt 0x0
	v_add_f64_e32 v[4:5], v[4:5], v[10:11]
	s_delay_alu instid0(VALU_DEP_2)
	v_add_lshl_u32 v11, v8, v3, 2
	v_lshl_or_b32 v3, v3, 2, 64
	ds_bpermute_b32 v8, v11, v6
	ds_bpermute_b32 v9, v11, v7
	;; [unrolled: 1-line block ×4, first 2 shown]
	s_wait_dscnt 0x2
	v_add_f64_e32 v[6:7], v[6:7], v[8:9]
	s_wait_dscnt 0x0
	v_add_f64_e32 v[8:9], v[4:5], v[10:11]
	ds_bpermute_b32 v4, v3, v6
	ds_bpermute_b32 v5, v3, v7
	;; [unrolled: 1-line block ×4, first 2 shown]
	v_and_b32_e32 v3, 31, v0
	s_wait_dscnt 0x2
	v_add_f64_e32 v[4:5], v[6:7], v[4:5]
	s_wait_dscnt 0x0
	v_add_f64_e32 v[6:7], v[8:9], v[10:11]
	v_cmpx_eq_u32_e32 0, v3
; %bb.9:
	v_lshrrev_b32_e32 v3, 1, v0
	s_delay_alu instid0(VALU_DEP_1)
	v_add_nc_u32_e32 v3, 0, v3
	ds_store_2addr_b64 v3, v[4:5], v[6:7] offset1:1
; %bb.10:
	s_or_b32 exec_lo, exec_lo, s1
	s_delay_alu instid0(SALU_CYCLE_1)
	s_mov_b32 s1, exec_lo
	s_wait_dscnt 0x0
	s_barrier_signal -1
	s_barrier_wait -1
	v_cmpx_eq_u32_e32 0, v0
	s_cbranch_execz .LBB18_12
; %bb.11:
	v_mov_b32_e32 v3, 0
	ds_load_2addr_b64 v[8:11], v3 offset0:2 offset1:3
	ds_load_2addr_b64 v[12:15], v3 offset0:4 offset1:5
	s_wait_dscnt 0x1
	v_add_f64_e32 v[4:5], v[4:5], v[8:9]
	v_add_f64_e32 v[6:7], v[6:7], v[10:11]
	s_wait_dscnt 0x0
	s_delay_alu instid0(VALU_DEP_2) | instskip(NEXT) | instid1(VALU_DEP_2)
	v_add_f64_e32 v[12:13], v[4:5], v[12:13]
	v_add_f64_e32 v[14:15], v[6:7], v[14:15]
	ds_load_2addr_b64 v[4:7], v3 offset0:6 offset1:7
	ds_load_2addr_b64 v[8:11], v3 offset0:8 offset1:9
	s_wait_dscnt 0x1
	v_add_f64_e32 v[4:5], v[12:13], v[4:5]
	v_add_f64_e32 v[6:7], v[14:15], v[6:7]
	s_wait_dscnt 0x0
	s_delay_alu instid0(VALU_DEP_2) | instskip(NEXT) | instid1(VALU_DEP_2)
	v_add_f64_e32 v[12:13], v[4:5], v[8:9]
	v_add_f64_e32 v[14:15], v[6:7], v[10:11]
	;; [unrolled: 9-line block ×15, first 2 shown]
	ds_load_2addr_b64 v[4:7], v3 offset0:62 offset1:63
	s_wait_dscnt 0x0
	v_add_f64_e32 v[4:5], v[8:9], v[4:5]
	v_add_f64_e32 v[6:7], v[10:11], v[6:7]
	ds_store_2addr_b64 v3, v[4:5], v[6:7] offset1:1
.LBB18_12:
	s_or_b32 exec_lo, exec_lo, s1
	s_wait_dscnt 0x0
	s_barrier_signal -1
	s_barrier_wait -1
	s_and_saveexec_b32 s0, vcc_lo
	s_cbranch_execz .LBB18_15
; %bb.13:
	s_mul_u64 s[0:1], s[14:15], s[24:25]
	s_delay_alu instid0(SALU_CYCLE_1) | instskip(NEXT) | instid1(SALU_CYCLE_1)
	s_lshl_b64 s[0:1], s[0:1], 4
	s_add_nc_u64 s[0:1], s[12:13], s[0:1]
	s_load_b128 s[4:7], s[0:1], 0x0
	v_mov_b32_e32 v3, 0
	s_wait_xcnt 0x0
	s_lshl_b64 s[0:1], s[20:21], 4
	ds_load_2addr_b64 v[4:7], v3 offset1:1
	s_wait_dscnt 0x0
	s_wait_kmcnt 0x0
	v_mul_f64_e32 v[8:9], s[6:7], v[6:7]
	v_mul_f64_e32 v[10:11], s[6:7], v[4:5]
	s_delay_alu instid0(VALU_DEP_2) | instskip(NEXT) | instid1(VALU_DEP_2)
	v_fma_f64 v[4:5], v[4:5], -s[4:5], -v[8:9]
	v_fma_f64 v[6:7], s[4:5], v[6:7], -v[10:11]
	s_lshl_b64 s[4:5], s[22:23], 4
	s_delay_alu instid0(SALU_CYCLE_1) | instskip(SKIP_1) | instid1(SALU_CYCLE_1)
	s_add_nc_u64 s[0:1], s[0:1], s[4:5]
	s_lshl_b64 s[4:5], s[18:19], 4
	s_add_nc_u64 s[0:1], s[0:1], s[4:5]
	s_delay_alu instid0(SALU_CYCLE_1) | instskip(NEXT) | instid1(SALU_CYCLE_1)
	s_add_nc_u64 s[0:1], s[16:17], s[0:1]
	v_add_nc_u64_e32 v[8:9], s[0:1], v[2:3]
	v_add3_u32 v2, v2, 0, 0x200
	s_mov_b32 s0, 0
	s_delay_alu instid0(VALU_DEP_2)
	v_add_nc_u64_e32 v[8:9], 8, v[8:9]
.LBB18_14:                              ; =>This Inner Loop Header: Depth=1
	global_load_b128 v[10:13], v[8:9], off offset:-8
	ds_load_2addr_b64 v[14:17], v2 offset1:1
	v_add_nc_u64_e32 v[0:1], 0x400, v[0:1]
	v_add_nc_u32_e32 v2, 0x4000, v2
	s_delay_alu instid0(VALU_DEP_2) | instskip(SKIP_4) | instid1(VALU_DEP_2)
	v_cmp_le_i64_e32 vcc_lo, s[2:3], v[0:1]
	s_or_b32 s0, vcc_lo, s0
	s_wait_dscnt 0x0
	v_mul_f64_e32 v[18:19], v[6:7], v[16:17]
	v_mul_f64_e32 v[16:17], v[4:5], v[16:17]
	v_fma_f64 v[18:19], v[4:5], v[14:15], -v[18:19]
	s_delay_alu instid0(VALU_DEP_2) | instskip(SKIP_1) | instid1(VALU_DEP_2)
	v_fmac_f64_e32 v[16:17], v[6:7], v[14:15]
	s_wait_loadcnt 0x0
	v_add_f64_e32 v[10:11], v[10:11], v[18:19]
	s_delay_alu instid0(VALU_DEP_2)
	v_add_f64_e32 v[12:13], v[16:17], v[12:13]
	global_store_b128 v[8:9], v[10:13], off offset:-8
	s_wait_xcnt 0x0
	v_add_nc_u64_e32 v[8:9], 0x4000, v[8:9]
	s_and_not1_b32 exec_lo, exec_lo, s0
	s_cbranch_execnz .LBB18_14
.LBB18_15:
	s_endpgm
	.section	.rodata,"a",@progbits
	.p2align	6, 0x0
	.amdhsa_kernel _ZN9rocsolver6v33100L16larf_left_kernelILi1024E19rocblas_complex_numIdElPS3_EEvT1_S5_T2_lS5_lPKT0_lS6_lS5_l
		.amdhsa_group_segment_fixed_size 0
		.amdhsa_private_segment_fixed_size 0
		.amdhsa_kernarg_size 96
		.amdhsa_user_sgpr_count 2
		.amdhsa_user_sgpr_dispatch_ptr 0
		.amdhsa_user_sgpr_queue_ptr 0
		.amdhsa_user_sgpr_kernarg_segment_ptr 1
		.amdhsa_user_sgpr_dispatch_id 0
		.amdhsa_user_sgpr_kernarg_preload_length 0
		.amdhsa_user_sgpr_kernarg_preload_offset 0
		.amdhsa_user_sgpr_private_segment_size 0
		.amdhsa_wavefront_size32 1
		.amdhsa_uses_dynamic_stack 0
		.amdhsa_enable_private_segment 0
		.amdhsa_system_sgpr_workgroup_id_x 1
		.amdhsa_system_sgpr_workgroup_id_y 1
		.amdhsa_system_sgpr_workgroup_id_z 1
		.amdhsa_system_sgpr_workgroup_info 0
		.amdhsa_system_vgpr_workitem_id 0
		.amdhsa_next_free_vgpr 24
		.amdhsa_next_free_sgpr 32
		.amdhsa_named_barrier_count 0
		.amdhsa_reserve_vcc 1
		.amdhsa_float_round_mode_32 0
		.amdhsa_float_round_mode_16_64 0
		.amdhsa_float_denorm_mode_32 3
		.amdhsa_float_denorm_mode_16_64 3
		.amdhsa_fp16_overflow 0
		.amdhsa_memory_ordered 1
		.amdhsa_forward_progress 1
		.amdhsa_inst_pref_size 16
		.amdhsa_round_robin_scheduling 0
		.amdhsa_exception_fp_ieee_invalid_op 0
		.amdhsa_exception_fp_denorm_src 0
		.amdhsa_exception_fp_ieee_div_zero 0
		.amdhsa_exception_fp_ieee_overflow 0
		.amdhsa_exception_fp_ieee_underflow 0
		.amdhsa_exception_fp_ieee_inexact 0
		.amdhsa_exception_int_div_zero 0
	.end_amdhsa_kernel
	.section	.text._ZN9rocsolver6v33100L16larf_left_kernelILi1024E19rocblas_complex_numIdElPS3_EEvT1_S5_T2_lS5_lPKT0_lS6_lS5_l,"axG",@progbits,_ZN9rocsolver6v33100L16larf_left_kernelILi1024E19rocblas_complex_numIdElPS3_EEvT1_S5_T2_lS5_lPKT0_lS6_lS5_l,comdat
.Lfunc_end18:
	.size	_ZN9rocsolver6v33100L16larf_left_kernelILi1024E19rocblas_complex_numIdElPS3_EEvT1_S5_T2_lS5_lPKT0_lS6_lS5_l, .Lfunc_end18-_ZN9rocsolver6v33100L16larf_left_kernelILi1024E19rocblas_complex_numIdElPS3_EEvT1_S5_T2_lS5_lPKT0_lS6_lS5_l
                                        ; -- End function
	.set _ZN9rocsolver6v33100L16larf_left_kernelILi1024E19rocblas_complex_numIdElPS3_EEvT1_S5_T2_lS5_lPKT0_lS6_lS5_l.num_vgpr, 24
	.set _ZN9rocsolver6v33100L16larf_left_kernelILi1024E19rocblas_complex_numIdElPS3_EEvT1_S5_T2_lS5_lPKT0_lS6_lS5_l.num_agpr, 0
	.set _ZN9rocsolver6v33100L16larf_left_kernelILi1024E19rocblas_complex_numIdElPS3_EEvT1_S5_T2_lS5_lPKT0_lS6_lS5_l.numbered_sgpr, 32
	.set _ZN9rocsolver6v33100L16larf_left_kernelILi1024E19rocblas_complex_numIdElPS3_EEvT1_S5_T2_lS5_lPKT0_lS6_lS5_l.num_named_barrier, 0
	.set _ZN9rocsolver6v33100L16larf_left_kernelILi1024E19rocblas_complex_numIdElPS3_EEvT1_S5_T2_lS5_lPKT0_lS6_lS5_l.private_seg_size, 0
	.set _ZN9rocsolver6v33100L16larf_left_kernelILi1024E19rocblas_complex_numIdElPS3_EEvT1_S5_T2_lS5_lPKT0_lS6_lS5_l.uses_vcc, 1
	.set _ZN9rocsolver6v33100L16larf_left_kernelILi1024E19rocblas_complex_numIdElPS3_EEvT1_S5_T2_lS5_lPKT0_lS6_lS5_l.uses_flat_scratch, 0
	.set _ZN9rocsolver6v33100L16larf_left_kernelILi1024E19rocblas_complex_numIdElPS3_EEvT1_S5_T2_lS5_lPKT0_lS6_lS5_l.has_dyn_sized_stack, 0
	.set _ZN9rocsolver6v33100L16larf_left_kernelILi1024E19rocblas_complex_numIdElPS3_EEvT1_S5_T2_lS5_lPKT0_lS6_lS5_l.has_recursion, 0
	.set _ZN9rocsolver6v33100L16larf_left_kernelILi1024E19rocblas_complex_numIdElPS3_EEvT1_S5_T2_lS5_lPKT0_lS6_lS5_l.has_indirect_call, 0
	.section	.AMDGPU.csdata,"",@progbits
; Kernel info:
; codeLenInByte = 1936
; TotalNumSgprs: 34
; NumVgprs: 24
; ScratchSize: 0
; MemoryBound: 0
; FloatMode: 240
; IeeeMode: 1
; LDSByteSize: 0 bytes/workgroup (compile time only)
; SGPRBlocks: 0
; VGPRBlocks: 1
; NumSGPRsForWavesPerEU: 34
; NumVGPRsForWavesPerEU: 24
; NamedBarCnt: 0
; Occupancy: 16
; WaveLimiterHint : 0
; COMPUTE_PGM_RSRC2:SCRATCH_EN: 0
; COMPUTE_PGM_RSRC2:USER_SGPR: 2
; COMPUTE_PGM_RSRC2:TRAP_HANDLER: 0
; COMPUTE_PGM_RSRC2:TGID_X_EN: 1
; COMPUTE_PGM_RSRC2:TGID_Y_EN: 1
; COMPUTE_PGM_RSRC2:TGID_Z_EN: 1
; COMPUTE_PGM_RSRC2:TIDIG_COMP_CNT: 0
	.section	.text._ZN9rocsolver6v33100L17larf_right_kernelILi1024E19rocblas_complex_numIdElPS3_EEvT1_S5_T2_lS5_lPKT0_lS6_lS5_l,"axG",@progbits,_ZN9rocsolver6v33100L17larf_right_kernelILi1024E19rocblas_complex_numIdElPS3_EEvT1_S5_T2_lS5_lPKT0_lS6_lS5_l,comdat
	.globl	_ZN9rocsolver6v33100L17larf_right_kernelILi1024E19rocblas_complex_numIdElPS3_EEvT1_S5_T2_lS5_lPKT0_lS6_lS5_l ; -- Begin function _ZN9rocsolver6v33100L17larf_right_kernelILi1024E19rocblas_complex_numIdElPS3_EEvT1_S5_T2_lS5_lPKT0_lS6_lS5_l
	.p2align	8
	.type	_ZN9rocsolver6v33100L17larf_right_kernelILi1024E19rocblas_complex_numIdElPS3_EEvT1_S5_T2_lS5_lPKT0_lS6_lS5_l,@function
_ZN9rocsolver6v33100L17larf_right_kernelILi1024E19rocblas_complex_numIdElPS3_EEvT1_S5_T2_lS5_lPKT0_lS6_lS5_l: ; @_ZN9rocsolver6v33100L17larf_right_kernelILi1024E19rocblas_complex_numIdElPS3_EEvT1_S5_T2_lS5_lPKT0_lS6_lS5_l
; %bb.0:
	s_load_b512 s[4:19], s[0:1], 0x8
	s_mov_b64 s[26:27], 0
	s_wait_kmcnt 0x0
	v_cmp_gt_i64_e64 s2, s[10:11], 0
	s_and_b32 vcc_lo, exec_lo, s2
	s_cbranch_vccnz .LBB19_2
; %bb.1:
	s_sub_nc_u64 s[2:3], 1, s[4:5]
	s_delay_alu instid0(SALU_CYCLE_1)
	s_mul_u64 s[26:27], s[10:11], s[2:3]
.LBB19_2:
	s_clause 0x1
	s_load_b128 s[20:23], s[0:1], 0x48
	s_load_b64 s[24:25], s[0:1], 0x58
	s_wait_xcnt 0x0
	s_bfe_u32 s0, ttmp6, 0x40010
	s_bfe_u32 s2, ttmp6, 0x40014
	s_and_b32 s1, ttmp7, 0xffff
	s_add_co_i32 s0, s0, 1
	v_dual_mov_b32 v1, 0 :: v_dual_lshlrev_b32 v10, 4, v0
	s_lshr_b32 s28, ttmp7, 16
	s_add_co_i32 s2, s2, 1
	s_mul_i32 s0, s1, s0
	s_bfe_u32 s29, ttmp6, 0x40004
	s_mul_i32 s2, s28, s2
	s_bfe_u32 s30, ttmp6, 0x40008
	s_add_co_i32 s29, s29, s0
	s_getreg_b32 s0, hwreg(HW_REG_IB_STS2, 6, 4)
	s_add_co_i32 s30, s30, s2
	v_cmp_gt_i64_e32 vcc_lo, s[4:5], v[0:1]
	v_mov_b64_e32 v[2:3], 0
	v_mov_b64_e32 v[4:5], 0
	s_cmp_eq_u32 s0, 0
	s_mov_b32 s3, 0
	s_cselect_b32 s2, s28, s30
	s_cselect_b32 s28, s1, s29
	s_wait_kmcnt 0x0
	s_mul_u64 s[24:25], s[24:25], s[2:3]
	s_and_saveexec_b32 s29, vcc_lo
	s_cbranch_execz .LBB19_8
; %bb.3:
	v_mul_u64_e32 v[2:3], s[10:11], v[0:1]
	s_lshl_b64 s[8:9], s[8:9], 4
	s_mul_u64 s[0:1], s[12:13], s[2:3]
	s_lshl_b64 s[12:13], s[26:27], 4
	s_add_nc_u64 s[6:7], s[6:7], s[8:9]
	v_add3_u32 v11, v10, 0, 0x200
	s_lshl_b64 s[0:1], s[0:1], 4
	s_add_nc_u64 s[6:7], s[6:7], s[12:13]
	v_mov_b64_e32 v[4:5], v[0:1]
	s_add_nc_u64 s[0:1], s[6:7], s[0:1]
	v_mov_b32_e32 v6, v11
	s_lshl_b64 s[6:7], s[10:11], 14
	s_delay_alu instid0(VALU_DEP_4)
	v_lshl_add_u64 v[2:3], v[2:3], 4, s[0:1]
	s_mov_b32 s1, s3
.LBB19_4:                               ; =>This Inner Loop Header: Depth=1
	global_load_b128 v[12:15], v[2:3], off
	v_add_nc_u64_e32 v[4:5], 0x400, v[4:5]
	s_wait_xcnt 0x0
	v_add_nc_u64_e32 v[2:3], s[6:7], v[2:3]
	s_delay_alu instid0(VALU_DEP_2)
	v_cmp_le_i64_e64 s0, s[4:5], v[4:5]
	s_or_b32 s1, s0, s1
	s_wait_loadcnt 0x0
	ds_store_2addr_b64 v6, v[12:13], v[14:15] offset1:1
	v_add_nc_u32_e32 v6, 0x4000, v6
	s_and_not1_b32 exec_lo, exec_lo, s1
	s_cbranch_execnz .LBB19_4
; %bb.5:
	s_or_b32 exec_lo, exec_lo, s1
	v_mul_u64_e32 v[2:3], s[22:23], v[0:1]
	s_lshl_b32 s0, s28, 4
	s_mov_b32 s1, 0
	s_lshl_b64 s[6:7], s[20:21], 4
	s_add_nc_u64 s[8:9], s[18:19], s[0:1]
	s_lshl_b64 s[10:11], s[24:25], 4
	s_add_nc_u64 s[6:7], s[8:9], s[6:7]
	v_mov_b64_e32 v[8:9], v[0:1]
	s_add_nc_u64 s[6:7], s[6:7], s[10:11]
	s_delay_alu instid0(VALU_DEP_2) | instid1(SALU_CYCLE_1)
	v_lshl_add_u64 v[4:5], v[2:3], 4, s[6:7]
	v_mov_b64_e32 v[2:3], 0
	s_lshl_b64 s[6:7], s[22:23], 14
	s_delay_alu instid0(VALU_DEP_2)
	v_add_nc_u64_e32 v[6:7], 8, v[4:5]
	v_mov_b64_e32 v[4:5], 0
.LBB19_6:                               ; =>This Inner Loop Header: Depth=1
	global_load_b128 v[12:15], v[6:7], off offset:-8
	ds_load_2addr_b64 v[16:19], v11 offset1:1
	v_add_nc_u64_e32 v[8:9], 0x400, v[8:9]
	s_wait_xcnt 0x0
	v_add_nc_u64_e32 v[6:7], s[6:7], v[6:7]
	v_add_nc_u32_e32 v11, 0x4000, v11
	s_delay_alu instid0(VALU_DEP_3) | instskip(SKIP_4) | instid1(VALU_DEP_2)
	v_cmp_le_i64_e64 s0, s[4:5], v[8:9]
	s_or_b32 s1, s0, s1
	s_wait_loadcnt_dscnt 0x0
	v_mul_f64_e32 v[20:21], v[18:19], v[14:15]
	v_mul_f64_e32 v[14:15], v[16:17], v[14:15]
	v_fma_f64 v[16:17], v[16:17], v[12:13], -v[20:21]
	s_delay_alu instid0(VALU_DEP_2) | instskip(NEXT) | instid1(VALU_DEP_2)
	v_fmac_f64_e32 v[14:15], v[18:19], v[12:13]
	v_add_f64_e32 v[4:5], v[4:5], v[16:17]
	s_delay_alu instid0(VALU_DEP_2)
	v_add_f64_e32 v[2:3], v[2:3], v[14:15]
	s_and_not1_b32 exec_lo, exec_lo, s1
	s_cbranch_execnz .LBB19_6
; %bb.7:
	s_or_b32 exec_lo, exec_lo, s1
.LBB19_8:
	s_delay_alu instid0(SALU_CYCLE_1) | instskip(SKIP_2) | instid1(VALU_DEP_1)
	s_or_b32 exec_lo, exec_lo, s29
	v_mbcnt_lo_u32_b32 v11, -1, 0
	s_mov_b32 s1, exec_lo
	v_cmp_ne_u32_e64 s0, 31, v11
	s_delay_alu instid0(VALU_DEP_1) | instskip(SKIP_1) | instid1(VALU_DEP_2)
	v_add_co_ci_u32_e64 v6, null, 0, v11, s0
	v_cmp_gt_u32_e64 s0, 30, v11
	v_lshlrev_b32_e32 v9, 2, v6
	ds_bpermute_b32 v6, v9, v4
	ds_bpermute_b32 v7, v9, v5
	;; [unrolled: 1-line block ×4, first 2 shown]
	s_wait_dscnt 0x2
	v_add_f64_e32 v[4:5], v[4:5], v[6:7]
	v_cndmask_b32_e64 v6, 0, 2, s0
	s_wait_dscnt 0x0
	v_add_f64_e32 v[2:3], v[2:3], v[8:9]
	v_cmp_gt_u32_e64 s0, 28, v11
	s_delay_alu instid0(VALU_DEP_3)
	v_add_lshl_u32 v9, v6, v11, 2
	ds_bpermute_b32 v6, v9, v4
	ds_bpermute_b32 v7, v9, v5
	ds_bpermute_b32 v8, v9, v2
	ds_bpermute_b32 v9, v9, v3
	s_wait_dscnt 0x2
	v_add_f64_e32 v[4:5], v[4:5], v[6:7]
	v_cndmask_b32_e64 v6, 0, 4, s0
	s_wait_dscnt 0x0
	v_add_f64_e32 v[2:3], v[2:3], v[8:9]
	v_cmp_gt_u32_e64 s0, 24, v11
	s_delay_alu instid0(VALU_DEP_3)
	v_add_lshl_u32 v9, v6, v11, 2
	ds_bpermute_b32 v6, v9, v4
	ds_bpermute_b32 v7, v9, v5
	;; [unrolled: 1-line block ×4, first 2 shown]
	s_wait_dscnt 0x2
	v_add_f64_e32 v[4:5], v[4:5], v[6:7]
	v_cndmask_b32_e64 v6, 0, 8, s0
	s_wait_dscnt 0x0
	v_add_f64_e32 v[2:3], v[2:3], v[8:9]
	s_delay_alu instid0(VALU_DEP_2)
	v_add_lshl_u32 v9, v6, v11, 2
	ds_bpermute_b32 v6, v9, v4
	ds_bpermute_b32 v7, v9, v5
	;; [unrolled: 1-line block ×4, first 2 shown]
	s_wait_dscnt 0x2
	v_add_f64_e32 v[4:5], v[4:5], v[6:7]
	s_wait_dscnt 0x0
	v_add_f64_e32 v[6:7], v[2:3], v[8:9]
	v_lshl_or_b32 v9, v11, 2, 64
	ds_bpermute_b32 v2, v9, v4
	ds_bpermute_b32 v3, v9, v5
	;; [unrolled: 1-line block ×4, first 2 shown]
	s_wait_dscnt 0x2
	v_add_f64_e32 v[2:3], v[4:5], v[2:3]
	s_wait_dscnt 0x0
	v_add_f64_e32 v[4:5], v[6:7], v[8:9]
	v_and_b32_e32 v6, 31, v0
	s_delay_alu instid0(VALU_DEP_1)
	v_cmpx_eq_u32_e32 0, v6
; %bb.9:
	v_lshrrev_b32_e32 v6, 1, v0
	s_delay_alu instid0(VALU_DEP_1)
	v_add_nc_u32_e32 v6, 0, v6
	ds_store_2addr_b64 v6, v[2:3], v[4:5] offset1:1
; %bb.10:
	s_or_b32 exec_lo, exec_lo, s1
	s_delay_alu instid0(SALU_CYCLE_1)
	s_mov_b32 s1, exec_lo
	s_wait_dscnt 0x0
	s_barrier_signal -1
	s_barrier_wait -1
	v_cmpx_eq_u32_e32 0, v0
	s_cbranch_execz .LBB19_12
; %bb.11:
	v_mov_b32_e32 v11, 0
	ds_load_2addr_b64 v[6:9], v11 offset0:2 offset1:3
	ds_load_2addr_b64 v[12:15], v11 offset0:4 offset1:5
	s_wait_dscnt 0x1
	v_add_f64_e32 v[2:3], v[2:3], v[6:7]
	v_add_f64_e32 v[4:5], v[4:5], v[8:9]
	s_wait_dscnt 0x0
	s_delay_alu instid0(VALU_DEP_2) | instskip(NEXT) | instid1(VALU_DEP_2)
	v_add_f64_e32 v[12:13], v[2:3], v[12:13]
	v_add_f64_e32 v[14:15], v[4:5], v[14:15]
	ds_load_2addr_b64 v[2:5], v11 offset0:6 offset1:7
	ds_load_2addr_b64 v[6:9], v11 offset0:8 offset1:9
	s_wait_dscnt 0x1
	v_add_f64_e32 v[2:3], v[12:13], v[2:3]
	v_add_f64_e32 v[4:5], v[14:15], v[4:5]
	s_wait_dscnt 0x0
	s_delay_alu instid0(VALU_DEP_2) | instskip(NEXT) | instid1(VALU_DEP_2)
	v_add_f64_e32 v[12:13], v[2:3], v[6:7]
	v_add_f64_e32 v[14:15], v[4:5], v[8:9]
	;; [unrolled: 9-line block ×15, first 2 shown]
	ds_load_2addr_b64 v[2:5], v11 offset0:62 offset1:63
	s_wait_dscnt 0x0
	v_add_f64_e32 v[2:3], v[6:7], v[2:3]
	v_add_f64_e32 v[4:5], v[8:9], v[4:5]
	ds_store_2addr_b64 v11, v[2:3], v[4:5] offset1:1
.LBB19_12:
	s_or_b32 exec_lo, exec_lo, s1
	s_wait_dscnt 0x0
	s_barrier_signal -1
	s_barrier_wait -1
	s_and_saveexec_b32 s0, vcc_lo
	s_cbranch_execz .LBB19_15
; %bb.13:
	s_mul_u64 s[0:1], s[16:17], s[2:3]
	v_mul_u64_e32 v[12:13], s[22:23], v[0:1]
	s_lshl_b64 s[0:1], s[0:1], 4
	s_lshl_b64 s[8:9], s[24:25], 4
	s_add_nc_u64 s[6:7], s[14:15], s[0:1]
	s_load_b128 s[0:3], s[6:7], 0x0
	v_mov_b32_e32 v2, 0
	ds_load_2addr_b64 v[4:7], v2 offset1:1
	s_wait_dscnt 0x0
	s_wait_kmcnt 0x0
	v_mul_f64_e32 v[2:3], s[0:1], v[4:5]
	v_mul_f64_e32 v[8:9], s[0:1], v[6:7]
	s_mov_b32 s1, 0
	s_lshl_b32 s0, s28, 4
	s_delay_alu instid0(SALU_CYCLE_1) | instskip(NEXT) | instid1(VALU_DEP_2)
	s_add_nc_u64 s[6:7], s[18:19], s[0:1]
	v_fma_f64 v[2:3], s[2:3], v[6:7], -v[2:3]
	s_delay_alu instid0(VALU_DEP_2) | instskip(SKIP_3) | instid1(SALU_CYCLE_1)
	v_fma_f64 v[4:5], v[4:5], -s[2:3], -v[8:9]
	s_lshl_b64 s[2:3], s[20:21], 4
	v_add3_u32 v8, v10, 0, 0x200
	s_add_nc_u64 s[2:3], s[6:7], s[2:3]
	s_add_nc_u64 s[2:3], s[2:3], s[8:9]
	s_delay_alu instid0(SALU_CYCLE_1) | instskip(SKIP_1) | instid1(VALU_DEP_1)
	v_lshl_add_u64 v[6:7], v[12:13], 4, s[2:3]
	s_lshl_b64 s[2:3], s[22:23], 14
	v_add_nc_u64_e32 v[6:7], 8, v[6:7]
.LBB19_14:                              ; =>This Inner Loop Header: Depth=1
	global_load_b128 v[10:13], v[6:7], off offset:-8
	ds_load_2addr_b64 v[14:17], v8 offset1:1
	v_add_nc_u64_e32 v[0:1], 0x400, v[0:1]
	v_add_nc_u32_e32 v8, 0x4000, v8
	s_delay_alu instid0(VALU_DEP_2) | instskip(SKIP_4) | instid1(VALU_DEP_2)
	v_cmp_le_i64_e32 vcc_lo, s[4:5], v[0:1]
	s_or_b32 s1, vcc_lo, s1
	s_wait_dscnt 0x0
	v_mul_f64_e32 v[18:19], v[4:5], v[16:17]
	v_mul_f64_e32 v[16:17], v[2:3], v[16:17]
	v_fmac_f64_e32 v[18:19], v[2:3], v[14:15]
	s_delay_alu instid0(VALU_DEP_2) | instskip(SKIP_1) | instid1(VALU_DEP_2)
	v_fma_f64 v[14:15], v[4:5], v[14:15], -v[16:17]
	s_wait_loadcnt 0x0
	v_add_f64_e32 v[10:11], v[10:11], v[18:19]
	s_delay_alu instid0(VALU_DEP_2)
	v_add_f64_e32 v[12:13], v[14:15], v[12:13]
	global_store_b128 v[6:7], v[10:13], off offset:-8
	s_wait_xcnt 0x0
	v_add_nc_u64_e32 v[6:7], s[2:3], v[6:7]
	s_and_not1_b32 exec_lo, exec_lo, s1
	s_cbranch_execnz .LBB19_14
.LBB19_15:
	s_endpgm
	.section	.rodata,"a",@progbits
	.p2align	6, 0x0
	.amdhsa_kernel _ZN9rocsolver6v33100L17larf_right_kernelILi1024E19rocblas_complex_numIdElPS3_EEvT1_S5_T2_lS5_lPKT0_lS6_lS5_l
		.amdhsa_group_segment_fixed_size 0
		.amdhsa_private_segment_fixed_size 0
		.amdhsa_kernarg_size 96
		.amdhsa_user_sgpr_count 2
		.amdhsa_user_sgpr_dispatch_ptr 0
		.amdhsa_user_sgpr_queue_ptr 0
		.amdhsa_user_sgpr_kernarg_segment_ptr 1
		.amdhsa_user_sgpr_dispatch_id 0
		.amdhsa_user_sgpr_kernarg_preload_length 0
		.amdhsa_user_sgpr_kernarg_preload_offset 0
		.amdhsa_user_sgpr_private_segment_size 0
		.amdhsa_wavefront_size32 1
		.amdhsa_uses_dynamic_stack 0
		.amdhsa_enable_private_segment 0
		.amdhsa_system_sgpr_workgroup_id_x 1
		.amdhsa_system_sgpr_workgroup_id_y 1
		.amdhsa_system_sgpr_workgroup_id_z 1
		.amdhsa_system_sgpr_workgroup_info 0
		.amdhsa_system_vgpr_workitem_id 0
		.amdhsa_next_free_vgpr 22
		.amdhsa_next_free_sgpr 31
		.amdhsa_named_barrier_count 0
		.amdhsa_reserve_vcc 1
		.amdhsa_float_round_mode_32 0
		.amdhsa_float_round_mode_16_64 0
		.amdhsa_float_denorm_mode_32 3
		.amdhsa_float_denorm_mode_16_64 3
		.amdhsa_fp16_overflow 0
		.amdhsa_memory_ordered 1
		.amdhsa_forward_progress 1
		.amdhsa_inst_pref_size 16
		.amdhsa_round_robin_scheduling 0
		.amdhsa_exception_fp_ieee_invalid_op 0
		.amdhsa_exception_fp_denorm_src 0
		.amdhsa_exception_fp_ieee_div_zero 0
		.amdhsa_exception_fp_ieee_overflow 0
		.amdhsa_exception_fp_ieee_underflow 0
		.amdhsa_exception_fp_ieee_inexact 0
		.amdhsa_exception_int_div_zero 0
	.end_amdhsa_kernel
	.section	.text._ZN9rocsolver6v33100L17larf_right_kernelILi1024E19rocblas_complex_numIdElPS3_EEvT1_S5_T2_lS5_lPKT0_lS6_lS5_l,"axG",@progbits,_ZN9rocsolver6v33100L17larf_right_kernelILi1024E19rocblas_complex_numIdElPS3_EEvT1_S5_T2_lS5_lPKT0_lS6_lS5_l,comdat
.Lfunc_end19:
	.size	_ZN9rocsolver6v33100L17larf_right_kernelILi1024E19rocblas_complex_numIdElPS3_EEvT1_S5_T2_lS5_lPKT0_lS6_lS5_l, .Lfunc_end19-_ZN9rocsolver6v33100L17larf_right_kernelILi1024E19rocblas_complex_numIdElPS3_EEvT1_S5_T2_lS5_lPKT0_lS6_lS5_l
                                        ; -- End function
	.set _ZN9rocsolver6v33100L17larf_right_kernelILi1024E19rocblas_complex_numIdElPS3_EEvT1_S5_T2_lS5_lPKT0_lS6_lS5_l.num_vgpr, 22
	.set _ZN9rocsolver6v33100L17larf_right_kernelILi1024E19rocblas_complex_numIdElPS3_EEvT1_S5_T2_lS5_lPKT0_lS6_lS5_l.num_agpr, 0
	.set _ZN9rocsolver6v33100L17larf_right_kernelILi1024E19rocblas_complex_numIdElPS3_EEvT1_S5_T2_lS5_lPKT0_lS6_lS5_l.numbered_sgpr, 31
	.set _ZN9rocsolver6v33100L17larf_right_kernelILi1024E19rocblas_complex_numIdElPS3_EEvT1_S5_T2_lS5_lPKT0_lS6_lS5_l.num_named_barrier, 0
	.set _ZN9rocsolver6v33100L17larf_right_kernelILi1024E19rocblas_complex_numIdElPS3_EEvT1_S5_T2_lS5_lPKT0_lS6_lS5_l.private_seg_size, 0
	.set _ZN9rocsolver6v33100L17larf_right_kernelILi1024E19rocblas_complex_numIdElPS3_EEvT1_S5_T2_lS5_lPKT0_lS6_lS5_l.uses_vcc, 1
	.set _ZN9rocsolver6v33100L17larf_right_kernelILi1024E19rocblas_complex_numIdElPS3_EEvT1_S5_T2_lS5_lPKT0_lS6_lS5_l.uses_flat_scratch, 0
	.set _ZN9rocsolver6v33100L17larf_right_kernelILi1024E19rocblas_complex_numIdElPS3_EEvT1_S5_T2_lS5_lPKT0_lS6_lS5_l.has_dyn_sized_stack, 0
	.set _ZN9rocsolver6v33100L17larf_right_kernelILi1024E19rocblas_complex_numIdElPS3_EEvT1_S5_T2_lS5_lPKT0_lS6_lS5_l.has_recursion, 0
	.set _ZN9rocsolver6v33100L17larf_right_kernelILi1024E19rocblas_complex_numIdElPS3_EEvT1_S5_T2_lS5_lPKT0_lS6_lS5_l.has_indirect_call, 0
	.section	.AMDGPU.csdata,"",@progbits
; Kernel info:
; codeLenInByte = 1936
; TotalNumSgprs: 33
; NumVgprs: 22
; ScratchSize: 0
; MemoryBound: 0
; FloatMode: 240
; IeeeMode: 1
; LDSByteSize: 0 bytes/workgroup (compile time only)
; SGPRBlocks: 0
; VGPRBlocks: 1
; NumSGPRsForWavesPerEU: 33
; NumVGPRsForWavesPerEU: 22
; NamedBarCnt: 0
; Occupancy: 16
; WaveLimiterHint : 0
; COMPUTE_PGM_RSRC2:SCRATCH_EN: 0
; COMPUTE_PGM_RSRC2:USER_SGPR: 2
; COMPUTE_PGM_RSRC2:TRAP_HANDLER: 0
; COMPUTE_PGM_RSRC2:TGID_X_EN: 1
; COMPUTE_PGM_RSRC2:TGID_Y_EN: 1
; COMPUTE_PGM_RSRC2:TGID_Z_EN: 1
; COMPUTE_PGM_RSRC2:TIDIG_COMP_CNT: 0
	.section	.AMDGPU.gpr_maximums,"",@progbits
	.set amdgpu.max_num_vgpr, 0
	.set amdgpu.max_num_agpr, 0
	.set amdgpu.max_num_sgpr, 0
	.section	.AMDGPU.csdata,"",@progbits
	.type	__hip_cuid_118a8160e0c28e80,@object ; @__hip_cuid_118a8160e0c28e80
	.section	.bss,"aw",@nobits
	.globl	__hip_cuid_118a8160e0c28e80
__hip_cuid_118a8160e0c28e80:
	.byte	0                               ; 0x0
	.size	__hip_cuid_118a8160e0c28e80, 1

	.ident	"AMD clang version 22.0.0git (https://github.com/RadeonOpenCompute/llvm-project roc-7.2.4 26084 f58b06dce1f9c15707c5f808fd002e18c2accf7e)"
	.section	".note.GNU-stack","",@progbits
	.addrsig
	.addrsig_sym __hip_cuid_118a8160e0c28e80
	.amdgpu_metadata
---
amdhsa.kernels:
  - .args:
      - .address_space:  global
        .offset:         0
        .size:           8
        .value_kind:     global_buffer
      - .offset:         8
        .size:           4
        .value_kind:     by_value
      - .offset:         12
        .size:           4
        .value_kind:     by_value
    .group_segment_fixed_size: 0
    .kernarg_segment_align: 8
    .kernarg_segment_size: 16
    .language:       OpenCL C
    .language_version:
      - 2
      - 0
    .max_flat_workgroup_size: 32
    .name:           _ZN9rocsolver6v33100L6iota_nIfEEvPT_jS2_
    .private_segment_fixed_size: 0
    .sgpr_count:     6
    .sgpr_spill_count: 0
    .symbol:         _ZN9rocsolver6v33100L6iota_nIfEEvPT_jS2_.kd
    .uniform_work_group_size: 1
    .uses_dynamic_stack: false
    .vgpr_count:     2
    .vgpr_spill_count: 0
    .wavefront_size: 32
  - .args:
      - .offset:         0
        .size:           4
        .value_kind:     by_value
      - .offset:         4
        .size:           4
        .value_kind:     by_value
      - .address_space:  global
        .offset:         8
        .size:           8
        .value_kind:     global_buffer
      - .offset:         16
        .size:           8
        .value_kind:     by_value
      - .offset:         24
        .size:           4
        .value_kind:     by_value
      - .offset:         32
        .size:           8
        .value_kind:     by_value
      - .address_space:  global
        .offset:         40
        .size:           8
        .value_kind:     global_buffer
      - .offset:         48
        .size:           8
        .value_kind:     by_value
      - .address_space:  global
        .offset:         56
        .size:           8
        .value_kind:     global_buffer
      - .offset:         64
        .size:           8
        .value_kind:     by_value
      - .offset:         72
        .size:           4
        .value_kind:     by_value
      - .offset:         80
        .size:           8
        .value_kind:     by_value
    .group_segment_fixed_size: 0
    .kernarg_segment_align: 8
    .kernarg_segment_size: 88
    .language:       OpenCL C
    .language_version:
      - 2
      - 0
    .max_flat_workgroup_size: 1024
    .name:           _ZN9rocsolver6v33100L16larf_left_kernelILi1024EfiPfEEvT1_S3_T2_lS3_lPKT0_lS4_lS3_l
    .private_segment_fixed_size: 0
    .sgpr_count:     38
    .sgpr_spill_count: 0
    .symbol:         _ZN9rocsolver6v33100L16larf_left_kernelILi1024EfiPfEEvT1_S3_T2_lS3_lPKT0_lS4_lS3_l.kd
    .uniform_work_group_size: 1
    .uses_dynamic_stack: false
    .vgpr_count:     20
    .vgpr_spill_count: 0
    .wavefront_size: 32
  - .args:
      - .offset:         0
        .size:           4
        .value_kind:     by_value
      - .offset:         4
        .size:           4
        .value_kind:     by_value
      - .address_space:  global
        .offset:         8
        .size:           8
        .value_kind:     global_buffer
      - .offset:         16
        .size:           8
        .value_kind:     by_value
      - .offset:         24
        .size:           4
        .value_kind:     by_value
      - .offset:         32
        .size:           8
        .value_kind:     by_value
      - .address_space:  global
        .offset:         40
        .size:           8
        .value_kind:     global_buffer
      - .offset:         48
        .size:           8
        .value_kind:     by_value
      - .address_space:  global
        .offset:         56
        .size:           8
        .value_kind:     global_buffer
      - .offset:         64
        .size:           8
        .value_kind:     by_value
      - .offset:         72
        .size:           4
        .value_kind:     by_value
      - .offset:         80
        .size:           8
        .value_kind:     by_value
    .group_segment_fixed_size: 0
    .kernarg_segment_align: 8
    .kernarg_segment_size: 88
    .language:       OpenCL C
    .language_version:
      - 2
      - 0
    .max_flat_workgroup_size: 1024
    .name:           _ZN9rocsolver6v33100L17larf_right_kernelILi1024EfiPfEEvT1_S3_T2_lS3_lPKT0_lS4_lS3_l
    .private_segment_fixed_size: 0
    .sgpr_count:     38
    .sgpr_spill_count: 0
    .symbol:         _ZN9rocsolver6v33100L17larf_right_kernelILi1024EfiPfEEvT1_S3_T2_lS3_lPKT0_lS4_lS3_l.kd
    .uniform_work_group_size: 1
    .uses_dynamic_stack: false
    .vgpr_count:     16
    .vgpr_spill_count: 0
    .wavefront_size: 32
  - .args:
      - .address_space:  global
        .offset:         0
        .size:           8
        .value_kind:     global_buffer
      - .offset:         8
        .size:           4
        .value_kind:     by_value
      - .offset:         16
        .size:           8
        .value_kind:     by_value
    .group_segment_fixed_size: 0
    .kernarg_segment_align: 8
    .kernarg_segment_size: 24
    .language:       OpenCL C
    .language_version:
      - 2
      - 0
    .max_flat_workgroup_size: 32
    .name:           _ZN9rocsolver6v33100L6iota_nIdEEvPT_jS2_
    .private_segment_fixed_size: 0
    .sgpr_count:     6
    .sgpr_spill_count: 0
    .symbol:         _ZN9rocsolver6v33100L6iota_nIdEEvPT_jS2_.kd
    .uniform_work_group_size: 1
    .uses_dynamic_stack: false
    .vgpr_count:     4
    .vgpr_spill_count: 0
    .wavefront_size: 32
  - .args:
      - .offset:         0
        .size:           4
        .value_kind:     by_value
      - .offset:         4
        .size:           4
        .value_kind:     by_value
      - .address_space:  global
        .offset:         8
        .size:           8
        .value_kind:     global_buffer
      - .offset:         16
        .size:           8
        .value_kind:     by_value
      - .offset:         24
        .size:           4
        .value_kind:     by_value
      - .offset:         32
        .size:           8
        .value_kind:     by_value
      - .address_space:  global
        .offset:         40
        .size:           8
        .value_kind:     global_buffer
      - .offset:         48
        .size:           8
        .value_kind:     by_value
      - .address_space:  global
        .offset:         56
        .size:           8
        .value_kind:     global_buffer
      - .offset:         64
        .size:           8
        .value_kind:     by_value
      - .offset:         72
        .size:           4
        .value_kind:     by_value
      - .offset:         80
        .size:           8
        .value_kind:     by_value
    .group_segment_fixed_size: 0
    .kernarg_segment_align: 8
    .kernarg_segment_size: 88
    .language:       OpenCL C
    .language_version:
      - 2
      - 0
    .max_flat_workgroup_size: 1024
    .name:           _ZN9rocsolver6v33100L16larf_left_kernelILi1024EdiPdEEvT1_S3_T2_lS3_lPKT0_lS4_lS3_l
    .private_segment_fixed_size: 0
    .sgpr_count:     28
    .sgpr_spill_count: 0
    .symbol:         _ZN9rocsolver6v33100L16larf_left_kernelILi1024EdiPdEEvT1_S3_T2_lS3_lPKT0_lS4_lS3_l.kd
    .uniform_work_group_size: 1
    .uses_dynamic_stack: false
    .vgpr_count:     14
    .vgpr_spill_count: 0
    .wavefront_size: 32
  - .args:
      - .offset:         0
        .size:           4
        .value_kind:     by_value
      - .offset:         4
        .size:           4
        .value_kind:     by_value
      - .address_space:  global
        .offset:         8
        .size:           8
        .value_kind:     global_buffer
      - .offset:         16
        .size:           8
        .value_kind:     by_value
      - .offset:         24
        .size:           4
        .value_kind:     by_value
      - .offset:         32
        .size:           8
        .value_kind:     by_value
      - .address_space:  global
        .offset:         40
        .size:           8
        .value_kind:     global_buffer
      - .offset:         48
        .size:           8
        .value_kind:     by_value
      - .address_space:  global
        .offset:         56
        .size:           8
        .value_kind:     global_buffer
      - .offset:         64
        .size:           8
        .value_kind:     by_value
      - .offset:         72
        .size:           4
        .value_kind:     by_value
      - .offset:         80
        .size:           8
        .value_kind:     by_value
    .group_segment_fixed_size: 0
    .kernarg_segment_align: 8
    .kernarg_segment_size: 88
    .language:       OpenCL C
    .language_version:
      - 2
      - 0
    .max_flat_workgroup_size: 1024
    .name:           _ZN9rocsolver6v33100L17larf_right_kernelILi1024EdiPdEEvT1_S3_T2_lS3_lPKT0_lS4_lS3_l
    .private_segment_fixed_size: 0
    .sgpr_count:     28
    .sgpr_spill_count: 0
    .symbol:         _ZN9rocsolver6v33100L17larf_right_kernelILi1024EdiPdEEvT1_S3_T2_lS3_lPKT0_lS4_lS3_l.kd
    .uniform_work_group_size: 1
    .uses_dynamic_stack: false
    .vgpr_count:     16
    .vgpr_spill_count: 0
    .wavefront_size: 32
  - .args:
      - .address_space:  global
        .offset:         0
        .size:           8
        .value_kind:     global_buffer
      - .offset:         8
        .size:           4
        .value_kind:     by_value
      - .offset:         12
        .size:           8
        .value_kind:     by_value
    .group_segment_fixed_size: 0
    .kernarg_segment_align: 8
    .kernarg_segment_size: 20
    .language:       OpenCL C
    .language_version:
      - 2
      - 0
    .max_flat_workgroup_size: 32
    .name:           _ZN9rocsolver6v33100L6iota_nI19rocblas_complex_numIfEEEvPT_jS4_
    .private_segment_fixed_size: 0
    .sgpr_count:     8
    .sgpr_spill_count: 0
    .symbol:         _ZN9rocsolver6v33100L6iota_nI19rocblas_complex_numIfEEEvPT_jS4_.kd
    .uniform_work_group_size: 1
    .uses_dynamic_stack: false
    .vgpr_count:     6
    .vgpr_spill_count: 0
    .wavefront_size: 32
  - .args:
      - .offset:         0
        .size:           4
        .value_kind:     by_value
      - .offset:         4
        .size:           4
        .value_kind:     by_value
      - .address_space:  global
        .offset:         8
        .size:           8
        .value_kind:     global_buffer
      - .offset:         16
        .size:           8
        .value_kind:     by_value
      - .offset:         24
        .size:           4
        .value_kind:     by_value
      - .offset:         32
        .size:           8
        .value_kind:     by_value
      - .address_space:  global
        .offset:         40
        .size:           8
        .value_kind:     global_buffer
      - .offset:         48
        .size:           8
        .value_kind:     by_value
      - .address_space:  global
        .offset:         56
        .size:           8
        .value_kind:     global_buffer
      - .offset:         64
        .size:           8
        .value_kind:     by_value
      - .offset:         72
        .size:           4
        .value_kind:     by_value
      - .offset:         80
        .size:           8
        .value_kind:     by_value
    .group_segment_fixed_size: 0
    .kernarg_segment_align: 8
    .kernarg_segment_size: 88
    .language:       OpenCL C
    .language_version:
      - 2
      - 0
    .max_flat_workgroup_size: 1024
    .name:           _ZN9rocsolver6v33100L16larf_left_kernelILi1024E19rocblas_complex_numIfEiPS3_EEvT1_S5_T2_lS5_lPKT0_lS6_lS5_l
    .private_segment_fixed_size: 0
    .sgpr_count:     28
    .sgpr_spill_count: 0
    .symbol:         _ZN9rocsolver6v33100L16larf_left_kernelILi1024E19rocblas_complex_numIfEiPS3_EEvT1_S5_T2_lS5_lPKT0_lS6_lS5_l.kd
    .uniform_work_group_size: 1
    .uses_dynamic_stack: false
    .vgpr_count:     28
    .vgpr_spill_count: 0
    .wavefront_size: 32
  - .args:
      - .offset:         0
        .size:           4
        .value_kind:     by_value
      - .offset:         4
        .size:           4
        .value_kind:     by_value
      - .address_space:  global
        .offset:         8
        .size:           8
        .value_kind:     global_buffer
      - .offset:         16
        .size:           8
        .value_kind:     by_value
      - .offset:         24
        .size:           4
        .value_kind:     by_value
      - .offset:         32
        .size:           8
        .value_kind:     by_value
      - .address_space:  global
        .offset:         40
        .size:           8
        .value_kind:     global_buffer
      - .offset:         48
        .size:           8
        .value_kind:     by_value
      - .address_space:  global
        .offset:         56
        .size:           8
        .value_kind:     global_buffer
      - .offset:         64
        .size:           8
        .value_kind:     by_value
      - .offset:         72
        .size:           4
        .value_kind:     by_value
      - .offset:         80
        .size:           8
        .value_kind:     by_value
    .group_segment_fixed_size: 0
    .kernarg_segment_align: 8
    .kernarg_segment_size: 88
    .language:       OpenCL C
    .language_version:
      - 2
      - 0
    .max_flat_workgroup_size: 1024
    .name:           _ZN9rocsolver6v33100L17larf_right_kernelILi1024E19rocblas_complex_numIfEiPS3_EEvT1_S5_T2_lS5_lPKT0_lS6_lS5_l
    .private_segment_fixed_size: 0
    .sgpr_count:     28
    .sgpr_spill_count: 0
    .symbol:         _ZN9rocsolver6v33100L17larf_right_kernelILi1024E19rocblas_complex_numIfEiPS3_EEvT1_S5_T2_lS5_lPKT0_lS6_lS5_l.kd
    .uniform_work_group_size: 1
    .uses_dynamic_stack: false
    .vgpr_count:     20
    .vgpr_spill_count: 0
    .wavefront_size: 32
  - .args:
      - .address_space:  global
        .offset:         0
        .size:           8
        .value_kind:     global_buffer
      - .offset:         8
        .size:           4
        .value_kind:     by_value
      - .offset:         16
        .size:           16
        .value_kind:     by_value
    .group_segment_fixed_size: 0
    .kernarg_segment_align: 8
    .kernarg_segment_size: 32
    .language:       OpenCL C
    .language_version:
      - 2
      - 0
    .max_flat_workgroup_size: 32
    .name:           _ZN9rocsolver6v33100L6iota_nI19rocblas_complex_numIdEEEvPT_jS4_
    .private_segment_fixed_size: 0
    .sgpr_count:     10
    .sgpr_spill_count: 0
    .symbol:         _ZN9rocsolver6v33100L6iota_nI19rocblas_complex_numIdEEEvPT_jS4_.kd
    .uniform_work_group_size: 1
    .uses_dynamic_stack: false
    .vgpr_count:     6
    .vgpr_spill_count: 0
    .wavefront_size: 32
  - .args:
      - .offset:         0
        .size:           4
        .value_kind:     by_value
      - .offset:         4
        .size:           4
        .value_kind:     by_value
      - .address_space:  global
        .offset:         8
        .size:           8
        .value_kind:     global_buffer
      - .offset:         16
        .size:           8
        .value_kind:     by_value
      - .offset:         24
        .size:           4
        .value_kind:     by_value
      - .offset:         32
        .size:           8
        .value_kind:     by_value
      - .address_space:  global
        .offset:         40
        .size:           8
        .value_kind:     global_buffer
      - .offset:         48
        .size:           8
        .value_kind:     by_value
      - .address_space:  global
        .offset:         56
        .size:           8
        .value_kind:     global_buffer
      - .offset:         64
        .size:           8
        .value_kind:     by_value
      - .offset:         72
        .size:           4
        .value_kind:     by_value
      - .offset:         80
        .size:           8
        .value_kind:     by_value
    .group_segment_fixed_size: 0
    .kernarg_segment_align: 8
    .kernarg_segment_size: 88
    .language:       OpenCL C
    .language_version:
      - 2
      - 0
    .max_flat_workgroup_size: 1024
    .name:           _ZN9rocsolver6v33100L16larf_left_kernelILi1024E19rocblas_complex_numIdEiPS3_EEvT1_S5_T2_lS5_lPKT0_lS6_lS5_l
    .private_segment_fixed_size: 0
    .sgpr_count:     28
    .sgpr_spill_count: 0
    .symbol:         _ZN9rocsolver6v33100L16larf_left_kernelILi1024E19rocblas_complex_numIdEiPS3_EEvT1_S5_T2_lS5_lPKT0_lS6_lS5_l.kd
    .uniform_work_group_size: 1
    .uses_dynamic_stack: false
    .vgpr_count:     20
    .vgpr_spill_count: 0
    .wavefront_size: 32
  - .args:
      - .offset:         0
        .size:           4
        .value_kind:     by_value
      - .offset:         4
        .size:           4
        .value_kind:     by_value
      - .address_space:  global
        .offset:         8
        .size:           8
        .value_kind:     global_buffer
      - .offset:         16
        .size:           8
        .value_kind:     by_value
      - .offset:         24
        .size:           4
        .value_kind:     by_value
      - .offset:         32
        .size:           8
        .value_kind:     by_value
      - .address_space:  global
        .offset:         40
        .size:           8
        .value_kind:     global_buffer
      - .offset:         48
        .size:           8
        .value_kind:     by_value
      - .address_space:  global
        .offset:         56
        .size:           8
        .value_kind:     global_buffer
      - .offset:         64
        .size:           8
        .value_kind:     by_value
      - .offset:         72
        .size:           4
        .value_kind:     by_value
      - .offset:         80
        .size:           8
        .value_kind:     by_value
    .group_segment_fixed_size: 0
    .kernarg_segment_align: 8
    .kernarg_segment_size: 88
    .language:       OpenCL C
    .language_version:
      - 2
      - 0
    .max_flat_workgroup_size: 1024
    .name:           _ZN9rocsolver6v33100L17larf_right_kernelILi1024E19rocblas_complex_numIdEiPS3_EEvT1_S5_T2_lS5_lPKT0_lS6_lS5_l
    .private_segment_fixed_size: 0
    .sgpr_count:     28
    .sgpr_spill_count: 0
    .symbol:         _ZN9rocsolver6v33100L17larf_right_kernelILi1024E19rocblas_complex_numIdEiPS3_EEvT1_S5_T2_lS5_lPKT0_lS6_lS5_l.kd
    .uniform_work_group_size: 1
    .uses_dynamic_stack: false
    .vgpr_count:     20
    .vgpr_spill_count: 0
    .wavefront_size: 32
  - .args:
      - .offset:         0
        .size:           8
        .value_kind:     by_value
      - .offset:         8
        .size:           8
        .value_kind:     by_value
      - .address_space:  global
        .offset:         16
        .size:           8
        .value_kind:     global_buffer
      - .offset:         24
        .size:           8
        .value_kind:     by_value
      - .offset:         32
        .size:           8
        .value_kind:     by_value
      - .offset:         40
        .size:           8
        .value_kind:     by_value
      - .address_space:  global
        .offset:         48
        .size:           8
        .value_kind:     global_buffer
      - .offset:         56
        .size:           8
        .value_kind:     by_value
      - .address_space:  global
        .offset:         64
        .size:           8
        .value_kind:     global_buffer
      - .offset:         72
        .size:           8
        .value_kind:     by_value
      - .offset:         80
        .size:           8
        .value_kind:     by_value
      - .offset:         88
        .size:           8
        .value_kind:     by_value
    .group_segment_fixed_size: 0
    .kernarg_segment_align: 8
    .kernarg_segment_size: 96
    .language:       OpenCL C
    .language_version:
      - 2
      - 0
    .max_flat_workgroup_size: 1024
    .name:           _ZN9rocsolver6v33100L16larf_left_kernelILi1024EflPfEEvT1_S3_T2_lS3_lPKT0_lS4_lS3_l
    .private_segment_fixed_size: 0
    .sgpr_count:     38
    .sgpr_spill_count: 0
    .symbol:         _ZN9rocsolver6v33100L16larf_left_kernelILi1024EflPfEEvT1_S3_T2_lS3_lPKT0_lS4_lS3_l.kd
    .uniform_work_group_size: 1
    .uses_dynamic_stack: false
    .vgpr_count:     20
    .vgpr_spill_count: 0
    .wavefront_size: 32
  - .args:
      - .offset:         0
        .size:           8
        .value_kind:     by_value
      - .offset:         8
        .size:           8
        .value_kind:     by_value
      - .address_space:  global
        .offset:         16
        .size:           8
        .value_kind:     global_buffer
      - .offset:         24
        .size:           8
        .value_kind:     by_value
      - .offset:         32
        .size:           8
        .value_kind:     by_value
      - .offset:         40
        .size:           8
        .value_kind:     by_value
      - .address_space:  global
        .offset:         48
        .size:           8
        .value_kind:     global_buffer
      - .offset:         56
        .size:           8
        .value_kind:     by_value
      - .address_space:  global
        .offset:         64
        .size:           8
        .value_kind:     global_buffer
      - .offset:         72
        .size:           8
        .value_kind:     by_value
      - .offset:         80
        .size:           8
        .value_kind:     by_value
      - .offset:         88
        .size:           8
        .value_kind:     by_value
    .group_segment_fixed_size: 0
    .kernarg_segment_align: 8
    .kernarg_segment_size: 96
    .language:       OpenCL C
    .language_version:
      - 2
      - 0
    .max_flat_workgroup_size: 1024
    .name:           _ZN9rocsolver6v33100L17larf_right_kernelILi1024EflPfEEvT1_S3_T2_lS3_lPKT0_lS4_lS3_l
    .private_segment_fixed_size: 0
    .sgpr_count:     42
    .sgpr_spill_count: 0
    .symbol:         _ZN9rocsolver6v33100L17larf_right_kernelILi1024EflPfEEvT1_S3_T2_lS3_lPKT0_lS4_lS3_l.kd
    .uniform_work_group_size: 1
    .uses_dynamic_stack: false
    .vgpr_count:     18
    .vgpr_spill_count: 0
    .wavefront_size: 32
  - .args:
      - .offset:         0
        .size:           8
        .value_kind:     by_value
      - .offset:         8
        .size:           8
        .value_kind:     by_value
      - .address_space:  global
        .offset:         16
        .size:           8
        .value_kind:     global_buffer
      - .offset:         24
        .size:           8
        .value_kind:     by_value
      - .offset:         32
        .size:           8
        .value_kind:     by_value
      - .offset:         40
        .size:           8
        .value_kind:     by_value
      - .address_space:  global
        .offset:         48
        .size:           8
        .value_kind:     global_buffer
      - .offset:         56
        .size:           8
        .value_kind:     by_value
      - .address_space:  global
        .offset:         64
        .size:           8
        .value_kind:     global_buffer
      - .offset:         72
        .size:           8
        .value_kind:     by_value
      - .offset:         80
        .size:           8
        .value_kind:     by_value
      - .offset:         88
        .size:           8
        .value_kind:     by_value
    .group_segment_fixed_size: 0
    .kernarg_segment_align: 8
    .kernarg_segment_size: 96
    .language:       OpenCL C
    .language_version:
      - 2
      - 0
    .max_flat_workgroup_size: 1024
    .name:           _ZN9rocsolver6v33100L16larf_left_kernelILi1024EdlPdEEvT1_S3_T2_lS3_lPKT0_lS4_lS3_l
    .private_segment_fixed_size: 0
    .sgpr_count:     34
    .sgpr_spill_count: 0
    .symbol:         _ZN9rocsolver6v33100L16larf_left_kernelILi1024EdlPdEEvT1_S3_T2_lS3_lPKT0_lS4_lS3_l.kd
    .uniform_work_group_size: 1
    .uses_dynamic_stack: false
    .vgpr_count:     16
    .vgpr_spill_count: 0
    .wavefront_size: 32
  - .args:
      - .offset:         0
        .size:           8
        .value_kind:     by_value
      - .offset:         8
        .size:           8
        .value_kind:     by_value
      - .address_space:  global
        .offset:         16
        .size:           8
        .value_kind:     global_buffer
      - .offset:         24
        .size:           8
        .value_kind:     by_value
      - .offset:         32
        .size:           8
        .value_kind:     by_value
      - .offset:         40
        .size:           8
        .value_kind:     by_value
      - .address_space:  global
        .offset:         48
        .size:           8
        .value_kind:     global_buffer
      - .offset:         56
        .size:           8
        .value_kind:     by_value
      - .address_space:  global
        .offset:         64
        .size:           8
        .value_kind:     global_buffer
      - .offset:         72
        .size:           8
        .value_kind:     by_value
      - .offset:         80
        .size:           8
        .value_kind:     by_value
      - .offset:         88
        .size:           8
        .value_kind:     by_value
    .group_segment_fixed_size: 0
    .kernarg_segment_align: 8
    .kernarg_segment_size: 96
    .language:       OpenCL C
    .language_version:
      - 2
      - 0
    .max_flat_workgroup_size: 1024
    .name:           _ZN9rocsolver6v33100L17larf_right_kernelILi1024EdlPdEEvT1_S3_T2_lS3_lPKT0_lS4_lS3_l
    .private_segment_fixed_size: 0
    .sgpr_count:     33
    .sgpr_spill_count: 0
    .symbol:         _ZN9rocsolver6v33100L17larf_right_kernelILi1024EdlPdEEvT1_S3_T2_lS3_lPKT0_lS4_lS3_l.kd
    .uniform_work_group_size: 1
    .uses_dynamic_stack: false
    .vgpr_count:     14
    .vgpr_spill_count: 0
    .wavefront_size: 32
  - .args:
      - .offset:         0
        .size:           8
        .value_kind:     by_value
      - .offset:         8
        .size:           8
        .value_kind:     by_value
      - .address_space:  global
        .offset:         16
        .size:           8
        .value_kind:     global_buffer
      - .offset:         24
        .size:           8
        .value_kind:     by_value
      - .offset:         32
        .size:           8
        .value_kind:     by_value
      - .offset:         40
        .size:           8
        .value_kind:     by_value
      - .address_space:  global
        .offset:         48
        .size:           8
        .value_kind:     global_buffer
      - .offset:         56
        .size:           8
        .value_kind:     by_value
      - .address_space:  global
        .offset:         64
        .size:           8
        .value_kind:     global_buffer
      - .offset:         72
        .size:           8
        .value_kind:     by_value
      - .offset:         80
        .size:           8
        .value_kind:     by_value
      - .offset:         88
        .size:           8
        .value_kind:     by_value
    .group_segment_fixed_size: 0
    .kernarg_segment_align: 8
    .kernarg_segment_size: 96
    .language:       OpenCL C
    .language_version:
      - 2
      - 0
    .max_flat_workgroup_size: 1024
    .name:           _ZN9rocsolver6v33100L16larf_left_kernelILi1024E19rocblas_complex_numIfElPS3_EEvT1_S5_T2_lS5_lPKT0_lS6_lS5_l
    .private_segment_fixed_size: 0
    .sgpr_count:     34
    .sgpr_spill_count: 0
    .symbol:         _ZN9rocsolver6v33100L16larf_left_kernelILi1024E19rocblas_complex_numIfElPS3_EEvT1_S5_T2_lS5_lPKT0_lS6_lS5_l.kd
    .uniform_work_group_size: 1
    .uses_dynamic_stack: false
    .vgpr_count:     28
    .vgpr_spill_count: 0
    .wavefront_size: 32
  - .args:
      - .offset:         0
        .size:           8
        .value_kind:     by_value
      - .offset:         8
        .size:           8
        .value_kind:     by_value
      - .address_space:  global
        .offset:         16
        .size:           8
        .value_kind:     global_buffer
      - .offset:         24
        .size:           8
        .value_kind:     by_value
      - .offset:         32
        .size:           8
        .value_kind:     by_value
      - .offset:         40
        .size:           8
        .value_kind:     by_value
      - .address_space:  global
        .offset:         48
        .size:           8
        .value_kind:     global_buffer
      - .offset:         56
        .size:           8
        .value_kind:     by_value
      - .address_space:  global
        .offset:         64
        .size:           8
        .value_kind:     global_buffer
      - .offset:         72
        .size:           8
        .value_kind:     by_value
      - .offset:         80
        .size:           8
        .value_kind:     by_value
      - .offset:         88
        .size:           8
        .value_kind:     by_value
    .group_segment_fixed_size: 0
    .kernarg_segment_align: 8
    .kernarg_segment_size: 96
    .language:       OpenCL C
    .language_version:
      - 2
      - 0
    .max_flat_workgroup_size: 1024
    .name:           _ZN9rocsolver6v33100L17larf_right_kernelILi1024E19rocblas_complex_numIfElPS3_EEvT1_S5_T2_lS5_lPKT0_lS6_lS5_l
    .private_segment_fixed_size: 0
    .sgpr_count:     33
    .sgpr_spill_count: 0
    .symbol:         _ZN9rocsolver6v33100L17larf_right_kernelILi1024E19rocblas_complex_numIfElPS3_EEvT1_S5_T2_lS5_lPKT0_lS6_lS5_l.kd
    .uniform_work_group_size: 1
    .uses_dynamic_stack: false
    .vgpr_count:     18
    .vgpr_spill_count: 0
    .wavefront_size: 32
  - .args:
      - .offset:         0
        .size:           8
        .value_kind:     by_value
      - .offset:         8
        .size:           8
        .value_kind:     by_value
      - .address_space:  global
        .offset:         16
        .size:           8
        .value_kind:     global_buffer
      - .offset:         24
        .size:           8
        .value_kind:     by_value
      - .offset:         32
        .size:           8
        .value_kind:     by_value
      - .offset:         40
        .size:           8
        .value_kind:     by_value
      - .address_space:  global
        .offset:         48
        .size:           8
        .value_kind:     global_buffer
      - .offset:         56
        .size:           8
        .value_kind:     by_value
      - .address_space:  global
        .offset:         64
        .size:           8
        .value_kind:     global_buffer
      - .offset:         72
        .size:           8
        .value_kind:     by_value
      - .offset:         80
        .size:           8
        .value_kind:     by_value
      - .offset:         88
        .size:           8
        .value_kind:     by_value
    .group_segment_fixed_size: 0
    .kernarg_segment_align: 8
    .kernarg_segment_size: 96
    .language:       OpenCL C
    .language_version:
      - 2
      - 0
    .max_flat_workgroup_size: 1024
    .name:           _ZN9rocsolver6v33100L16larf_left_kernelILi1024E19rocblas_complex_numIdElPS3_EEvT1_S5_T2_lS5_lPKT0_lS6_lS5_l
    .private_segment_fixed_size: 0
    .sgpr_count:     34
    .sgpr_spill_count: 0
    .symbol:         _ZN9rocsolver6v33100L16larf_left_kernelILi1024E19rocblas_complex_numIdElPS3_EEvT1_S5_T2_lS5_lPKT0_lS6_lS5_l.kd
    .uniform_work_group_size: 1
    .uses_dynamic_stack: false
    .vgpr_count:     24
    .vgpr_spill_count: 0
    .wavefront_size: 32
  - .args:
      - .offset:         0
        .size:           8
        .value_kind:     by_value
      - .offset:         8
        .size:           8
        .value_kind:     by_value
      - .address_space:  global
        .offset:         16
        .size:           8
        .value_kind:     global_buffer
      - .offset:         24
        .size:           8
        .value_kind:     by_value
      - .offset:         32
        .size:           8
        .value_kind:     by_value
      - .offset:         40
        .size:           8
        .value_kind:     by_value
      - .address_space:  global
        .offset:         48
        .size:           8
        .value_kind:     global_buffer
      - .offset:         56
        .size:           8
        .value_kind:     by_value
      - .address_space:  global
        .offset:         64
        .size:           8
        .value_kind:     global_buffer
      - .offset:         72
        .size:           8
        .value_kind:     by_value
      - .offset:         80
        .size:           8
        .value_kind:     by_value
      - .offset:         88
        .size:           8
        .value_kind:     by_value
    .group_segment_fixed_size: 0
    .kernarg_segment_align: 8
    .kernarg_segment_size: 96
    .language:       OpenCL C
    .language_version:
      - 2
      - 0
    .max_flat_workgroup_size: 1024
    .name:           _ZN9rocsolver6v33100L17larf_right_kernelILi1024E19rocblas_complex_numIdElPS3_EEvT1_S5_T2_lS5_lPKT0_lS6_lS5_l
    .private_segment_fixed_size: 0
    .sgpr_count:     33
    .sgpr_spill_count: 0
    .symbol:         _ZN9rocsolver6v33100L17larf_right_kernelILi1024E19rocblas_complex_numIdElPS3_EEvT1_S5_T2_lS5_lPKT0_lS6_lS5_l.kd
    .uniform_work_group_size: 1
    .uses_dynamic_stack: false
    .vgpr_count:     22
    .vgpr_spill_count: 0
    .wavefront_size: 32
amdhsa.target:   amdgcn-amd-amdhsa--gfx1250
amdhsa.version:
  - 1
  - 2
...

	.end_amdgpu_metadata
